;; amdgpu-corpus repo=ggml-org/llama.cpp kind=compiled arch=gfx1201 opt=O3
	.amdgcn_target "amdgcn-amd-amdhsa--gfx1201"
	.amdhsa_code_object_version 6
	.section	.text._ZL13mm_ids_helperILi2EEvPKiPiS2_S2_iiiii,"axG",@progbits,_ZL13mm_ids_helperILi2EEvPKiPiS2_S2_iiiii,comdat
	.globl	_ZL13mm_ids_helperILi2EEvPKiPiS2_S2_iiiii ; -- Begin function _ZL13mm_ids_helperILi2EEvPKiPiS2_S2_iiiii
	.p2align	8
	.type	_ZL13mm_ids_helperILi2EEvPKiPiS2_S2_iiiii,@function
_ZL13mm_ids_helperILi2EEvPKiPiS2_S2_iiiii: ; @_ZL13mm_ids_helperILi2EEvPKiPiS2_S2_iiiii
; %bb.0:
	s_load_b32 s27, s[0:1], 0x20
	v_mbcnt_lo_u32_b32 v4, -1, 0
	s_mov_b32 s2, 0
	s_wait_kmcnt 0x0
	s_cmp_gt_i32 s27, 0
	s_cbranch_scc1 .LBB0_2
; %bb.1:
	v_mbcnt_lo_u32_b32 v1, -1, 0
	v_mov_b32_e32 v6, 0
	s_delay_alu instid0(VALU_DEP_2)
	v_xor_b32_e32 v3, 1, v1
	s_branch .LBB0_3
.LBB0_2:
	s_mov_b32 s2, -1
                                        ; implicit-def: $vgpr1
                                        ; implicit-def: $vgpr6
                                        ; implicit-def: $vgpr3
.LBB0_3:
	s_clause 0x1
	s_load_b128 s[20:23], s[0:1], 0x8
	s_load_b96 s[24:26], s[0:1], 0x28
	v_mov_b32_e32 v15, 0
	v_mov_b32_e32 v5, 0
	s_and_not1_b32 vcc_lo, exec_lo, s2
	s_cbranch_vccnz .LBB0_11
; %bb.4:
	v_dual_mov_b32 v6, 0 :: v_dual_and_b32 v1, 30, v4
	v_xor_b32_e32 v3, 1, v4
	v_add_nc_u32_e32 v5, -2, v4
	v_add_nc_u32_e32 v12, -4, v4
	s_delay_alu instid0(VALU_DEP_4) | instskip(SKIP_2) | instid1(VALU_DEP_3)
	v_add_nc_u32_e32 v2, 2, v1
	v_dual_mov_b32 v8, 0x7c :: v_dual_and_b32 v1, 1, v0
	v_dual_mov_b32 v27, 0 :: v_dual_add_nc_u32 v14, -8, v4
	v_cmp_lt_i32_e32 vcc_lo, v3, v2
	v_add_nc_u32_e32 v15, -12, v4
	s_load_b64 s[18:19], s[0:1], 0x0
	v_lshrrev_b32_e32 v7, 1, v0
	v_cmp_gt_u32_e64 s2, 2, v0
	v_cndmask_b32_e32 v2, v4, v3, vcc_lo
	v_cmp_gt_i32_e32 vcc_lo, 0, v5
	v_cmp_gt_u32_e64 s3, 4, v0
	v_cmp_gt_u32_e64 s4, 6, v0
	;; [unrolled: 1-line block ×4, first 2 shown]
	s_wait_alu 0xfffd
	v_cndmask_b32_e32 v5, v5, v4, vcc_lo
	v_cmp_gt_i32_e32 vcc_lo, 0, v12
	v_lshlrev_b32_e32 v10, 2, v2
	v_add_nc_u32_e32 v2, -6, v4
	v_cmp_gt_u32_e64 s7, 12, v0
	v_lshlrev_b32_e32 v11, 2, v5
	s_wait_alu 0xfffd
	v_cndmask_b32_e32 v5, v12, v4, vcc_lo
	v_cmp_gt_u32_e64 s8, 14, v0
	v_cmp_gt_i32_e32 vcc_lo, 0, v2
	v_lshlrev_b32_e32 v9, 22, v1
	v_cmp_gt_u32_e64 s9, 16, v0
	v_lshlrev_b32_e32 v12, 2, v5
	v_add_nc_u32_e32 v5, -10, v4
	s_wait_alu 0xfffd
	v_cndmask_b32_e32 v2, v2, v4, vcc_lo
	v_cmp_gt_i32_e32 vcc_lo, 0, v14
	v_cmp_gt_u32_e64 s10, 18, v0
	v_cmp_gt_u32_e64 s11, 20, v0
	;; [unrolled: 1-line block ×3, first 2 shown]
	s_wait_alu 0xfffd
	v_dual_cndmask_b32 v2, v14, v4 :: v_dual_lshlrev_b32 v13, 2, v2
	v_cmp_gt_i32_e32 vcc_lo, 0, v5
	v_cmp_gt_u32_e64 s13, 24, v0
	v_cmp_gt_u32_e64 s14, 26, v0
	;; [unrolled: 1-line block ×4, first 2 shown]
	s_wait_alu 0xfffd
	v_cndmask_b32_e32 v5, v5, v4, vcc_lo
	v_cmp_gt_i32_e32 vcc_lo, 0, v15
	v_lshlrev_b32_e32 v14, 2, v2
	v_add_nc_u32_e32 v2, -14, v4
	s_wait_alu 0xfffd
	v_dual_cndmask_b32 v5, v15, v4 :: v_dual_lshlrev_b32 v16, 2, v5
	v_add_nc_u32_e32 v15, -16, v4
	s_delay_alu instid0(VALU_DEP_3) | instskip(SKIP_2) | instid1(VALU_DEP_3)
	v_cmp_gt_i32_e32 vcc_lo, 0, v2
	s_wait_alu 0xfffd
	v_cndmask_b32_e32 v2, v2, v4, vcc_lo
	v_cmp_gt_i32_e32 vcc_lo, 0, v15
	v_lshlrev_b32_e32 v17, 2, v5
	v_subrev_nc_u32_e32 v5, 18, v4
	s_delay_alu instid0(VALU_DEP_4) | instskip(SKIP_4) | instid1(VALU_DEP_3)
	v_lshlrev_b32_e32 v18, 2, v2
	s_wait_alu 0xfffd
	v_cndmask_b32_e32 v2, v15, v4, vcc_lo
	v_subrev_nc_u32_e32 v15, 20, v4
	v_cmp_gt_i32_e32 vcc_lo, 0, v5
	v_lshlrev_b32_e32 v19, 2, v2
	v_subrev_nc_u32_e32 v2, 22, v4
	s_wait_alu 0xfffd
	v_cndmask_b32_e32 v5, v5, v4, vcc_lo
	v_cmp_gt_i32_e32 vcc_lo, 0, v15
	s_wait_alu 0xfffd
	s_delay_alu instid0(VALU_DEP_2) | instskip(SKIP_4) | instid1(VALU_DEP_3)
	v_dual_cndmask_b32 v5, v15, v4 :: v_dual_lshlrev_b32 v20, 2, v5
	v_subrev_nc_u32_e32 v15, 24, v4
	v_cmp_gt_i32_e32 vcc_lo, 0, v2
	s_wait_alu 0xfffd
	v_cndmask_b32_e32 v2, v2, v4, vcc_lo
	v_cmp_gt_i32_e32 vcc_lo, 0, v15
	s_delay_alu instid0(VALU_DEP_2)
	v_lshlrev_b32_e32 v22, 2, v2
	v_subrev_nc_u32_e32 v2, 26, v4
	v_lshlrev_b32_e32 v21, 2, v5
	s_wait_alu 0xfffd
	v_cndmask_b32_e32 v5, v15, v4, vcc_lo
	v_subrev_nc_u32_e32 v15, 30, v4
	v_cmp_gt_i32_e32 vcc_lo, 0, v2
	s_delay_alu instid0(VALU_DEP_3) | instskip(SKIP_3) | instid1(VALU_DEP_2)
	v_lshlrev_b32_e32 v23, 2, v5
	v_subrev_nc_u32_e32 v5, 28, v4
	s_wait_alu 0xfffd
	v_cndmask_b32_e32 v2, v2, v4, vcc_lo
	v_cmp_gt_i32_e32 vcc_lo, 0, v5
	s_delay_alu instid0(VALU_DEP_2)
	v_lshlrev_b32_e32 v24, 2, v2
	s_wait_kmcnt 0x0
	v_mad_co_u64_u32 v[1:2], null, s25, v7, v[1:2]
	s_wait_alu 0xfffd
	v_cndmask_b32_e32 v5, v5, v4, vcc_lo
	v_cmp_gt_i32_e32 vcc_lo, 0, v15
	s_lshl_b32 s25, s25, 4
	s_delay_alu instid0(VALU_DEP_2) | instskip(SKIP_2) | instid1(VALU_DEP_1)
	v_lshlrev_b32_e32 v25, 2, v5
	s_wait_alu 0xfffd
	v_cndmask_b32_e32 v15, v15, v4, vcc_lo
	v_dual_mov_b32 v5, 0 :: v_dual_lshlrev_b32 v26, 2, v15
	v_mov_b32_e32 v15, 0
	s_branch .LBB0_6
.LBB0_5:                                ;   in Loop: Header=BB0_6 Depth=1
	s_wait_alu 0xfffe
	s_or_b32 exec_lo, exec_lo, s17
	v_add_nc_u32_e32 v28, v30, v29
	v_add_nc_u32_e32 v27, 16, v27
	v_cmp_gt_i32_e64 s17, ttmp9, v2
	v_add_nc_u32_e32 v1, s25, v1
	ds_bpermute_b32 v28, v8, v28
	v_cmp_le_i32_e32 vcc_lo, s27, v27
	s_wait_alu 0xf1ff
	v_add_co_ci_u32_e64 v15, null, 0, v15, s17
	s_wait_dscnt 0x0
	v_add_nc_u32_e32 v5, v28, v5
	s_cbranch_vccnz .LBB0_10
.LBB0_6:                                ; =>This Inner Loop Header: Depth=1
	v_add_nc_u32_e32 v28, v7, v27
	v_bfrev_b32_e32 v2, -2
	s_mov_b32 s17, exec_lo
	s_delay_alu instid0(VALU_DEP_2)
	v_cmpx_gt_i32_e64 s27, v28
	s_cbranch_execz .LBB0_8
; %bb.7:                                ;   in Loop: Header=BB0_6 Depth=1
	v_ashrrev_i32_e32 v2, 31, v1
	s_delay_alu instid0(VALU_DEP_1) | instskip(NEXT) | instid1(VALU_DEP_1)
	v_lshlrev_b64_e32 v[29:30], 2, v[1:2]
	v_add_co_u32 v29, vcc_lo, s18, v29
	s_wait_alu 0xfffd
	s_delay_alu instid0(VALU_DEP_2)
	v_add_co_ci_u32_e64 v30, null, s19, v30, vcc_lo
	global_load_b32 v2, v[29:30], off
.LBB0_8:                                ;   in Loop: Header=BB0_6 Depth=1
	s_wait_alu 0xfffe
	s_or_b32 exec_lo, exec_lo, s17
	s_wait_loadcnt 0x0
	v_cmp_eq_u32_e32 vcc_lo, ttmp9, v2
	s_wait_alu 0xfffd
	v_cndmask_b32_e64 v29, 0, 1, vcc_lo
	ds_bpermute_b32 v30, v10, v29
	s_wait_dscnt 0x0
	v_or_b32_e32 v29, v30, v29
	s_delay_alu instid0(VALU_DEP_1) | instskip(SKIP_1) | instid1(VALU_DEP_1)
	v_cmp_ne_u32_e64 s17, 0, v29
	s_wait_alu 0xf1ff
	v_cndmask_b32_e64 v29, 0, 1, s17
	ds_bpermute_b32 v30, v11, v29
	ds_bpermute_b32 v31, v12, v29
	;; [unrolled: 1-line block ×13, first 2 shown]
	s_wait_dscnt 0xc
	v_cndmask_b32_e64 v30, v30, 0, s2
	s_wait_dscnt 0xb
	v_cndmask_b32_e64 v31, v31, 0, s3
	;; [unrolled: 2-line block ×5, first 2 shown]
	v_add3_u32 v30, v31, v30, v32
	ds_bpermute_b32 v31, v25, v29
	s_wait_dscnt 0x8
	v_cndmask_b32_e64 v32, v35, 0, s7
	s_wait_dscnt 0x7
	v_cndmask_b32_e64 v35, v36, 0, s8
	;; [unrolled: 2-line block ×3, first 2 shown]
	v_add3_u32 v30, v33, v30, v34
	ds_bpermute_b32 v33, v26, v29
	v_cndmask_b32_e64 v34, v37, 0, s9
	v_add3_u32 v30, v32, v30, v35
	s_wait_dscnt 0x5
	v_cndmask_b32_e64 v32, v39, 0, s11
	s_wait_dscnt 0x4
	v_cndmask_b32_e64 v35, v40, 0, s12
	v_add3_u32 v30, v34, v30, v36
	s_wait_dscnt 0x3
	v_cndmask_b32_e64 v34, v41, 0, s13
	s_wait_dscnt 0x2
	v_cndmask_b32_e64 v36, v42, 0, s14
	v_add3_u32 v30, v32, v30, v35
	s_wait_dscnt 0x1
	v_cndmask_b32_e64 v31, v31, 0, s15
	s_delay_alu instid0(VALU_DEP_2) | instskip(SKIP_2) | instid1(VALU_DEP_1)
	v_add3_u32 v30, v34, v30, v36
	s_wait_dscnt 0x0
	v_cndmask_b32_e64 v32, v33, 0, s16
	v_add3_u32 v30, v31, v30, v32
	s_and_saveexec_b32 s17, vcc_lo
	s_cbranch_execz .LBB0_5
; %bb.9:                                ;   in Loop: Header=BB0_6 Depth=1
	v_lshlrev_b32_e32 v31, 2, v5
	s_delay_alu instid0(VALU_DEP_2) | instskip(SKIP_1) | instid1(VALU_DEP_2)
	v_lshlrev_b32_e32 v32, 2, v30
	v_and_or_b32 v28, 0x3fffff, v28, v9
	v_add3_u32 v31, 0, v31, v32
	ds_store_b32 v31, v28
	s_branch .LBB0_5
.LBB0_10:
	v_mov_b32_e32 v1, v4
.LBB0_11:
	v_add_nc_u32_e32 v4, 32, v6
	s_delay_alu instid0(VALU_DEP_2)
	v_xor_b32_e32 v2, 16, v1
	v_xor_b32_e32 v6, 8, v1
	;; [unrolled: 1-line block ×3, first 2 shown]
	s_load_b64 s[4:5], s[0:1], 0x18
	s_mov_b32 s3, exec_lo
	v_cmp_lt_i32_e32 vcc_lo, v2, v4
	s_wait_alu 0xfffd
	v_cndmask_b32_e32 v2, v1, v2, vcc_lo
	v_cmp_lt_i32_e32 vcc_lo, v6, v4
	s_delay_alu instid0(VALU_DEP_2)
	v_lshlrev_b32_e32 v2, 2, v2
	ds_bpermute_b32 v2, v2, v15
	s_wait_alu 0xfffd
	v_cndmask_b32_e32 v6, v1, v6, vcc_lo
	v_cmp_lt_i32_e32 vcc_lo, v8, v4
	s_wait_dscnt 0x0
	v_add_nc_u32_e32 v7, v2, v15
	s_delay_alu instid0(VALU_DEP_3) | instskip(SKIP_4) | instid1(VALU_DEP_1)
	v_lshlrev_b32_e32 v6, 2, v6
	ds_bpermute_b32 v6, v6, v7
	s_wait_dscnt 0x0
	s_wait_alu 0xfffd
	v_dual_cndmask_b32 v8, v1, v8 :: v_dual_add_nc_u32 v9, v6, v7
	v_lshlrev_b32_e32 v8, 2, v8
	ds_bpermute_b32 v7, v8, v9
	v_xor_b32_e32 v8, 2, v1
	s_delay_alu instid0(VALU_DEP_1)
	v_cmp_lt_i32_e32 vcc_lo, v8, v4
	s_wait_alu 0xfffd
	v_cndmask_b32_e32 v8, v1, v8, vcc_lo
	v_cmp_lt_i32_e32 vcc_lo, v3, v4
	s_wait_alu 0xfffd
	v_cndmask_b32_e32 v1, v1, v3, vcc_lo
	s_wait_dscnt 0x0
	v_add_nc_u32_e32 v9, v7, v9
	s_delay_alu instid0(VALU_DEP_2)
	v_lshlrev_b32_e32 v1, 2, v1
	v_lshlrev_b32_e32 v8, 2, v8
	ds_bpermute_b32 v8, v8, v9
	s_wait_dscnt 0x0
	v_add_nc_u32_e32 v3, v8, v9
	ds_bpermute_b32 v4, v1, v3
	v_cmpx_lt_i32_e64 v0, v5
	s_cbranch_execz .LBB0_14
; %bb.12:
	s_wait_kmcnt 0x0
	s_abs_i32 s6, s24
	s_wait_alu 0xfffe
	s_cvt_f32_u32 s2, s6
	s_sub_co_i32 s7, 0, s6
	s_wait_alu 0xfffe
	s_delay_alu instid0(SALU_CYCLE_1) | instskip(NEXT) | instid1(TRANS32_DEP_1)
	v_rcp_iflag_f32_e32 v1, s2
	v_readfirstlane_b32 s2, v1
	v_add3_u32 v1, v2, v6, v7
	v_lshl_add_u32 v6, v0, 2, 0
	v_mov_b32_e32 v7, v0
	s_mul_f32 s2, s2, 0x4f7ffffe
	s_wait_dscnt 0x0
	v_add3_u32 v1, v1, v8, v4
	s_wait_alu 0xfffe
	s_cvt_u32_f32 s2, s2
	s_delay_alu instid0(VALU_DEP_1) | instskip(SKIP_1) | instid1(SALU_CYCLE_1)
	v_add3_u32 v1, v1, v0, v15
	s_wait_alu 0xfffe
	s_mul_i32 s7, s7, s2
	s_wait_alu 0xfffe
	s_mul_hi_u32 s8, s2, s7
	s_mov_b32 s7, 0
	s_wait_alu 0xfffe
	s_add_co_i32 s8, s2, s8
.LBB0_13:                               ; =>This Inner Loop Header: Depth=1
	ds_load_b32 v12, v6
	v_add_nc_u32_e32 v7, 32, v7
	v_add_nc_u32_e32 v6, 0x80, v6
	s_wait_dscnt 0x0
	v_lshrrev_b32_e32 v14, 22, v12
	v_and_b32_e32 v15, 0x3fffff, v12
	s_wait_alu 0xfffe
	s_delay_alu instid0(VALU_DEP_2) | instskip(NEXT) | instid1(VALU_DEP_1)
	v_mul_hi_u32 v2, v14, s8
	v_mul_lo_u32 v2, v2, s6
	s_delay_alu instid0(VALU_DEP_1) | instskip(SKIP_1) | instid1(VALU_DEP_2)
	v_sub_nc_u32_e32 v10, v14, v2
	v_ashrrev_i32_e32 v2, 31, v1
	v_subrev_nc_u32_e32 v11, s6, v10
	v_cmp_le_u32_e32 vcc_lo, s6, v10
	s_delay_alu instid0(VALU_DEP_3) | instskip(SKIP_1) | instid1(VALU_DEP_3)
	v_lshlrev_b64_e32 v[8:9], 2, v[1:2]
	s_wait_alu 0xfffd
	v_dual_cndmask_b32 v2, v10, v11 :: v_dual_add_nc_u32 v1, 32, v1
	v_cmp_ge_i32_e32 vcc_lo, v7, v5
	s_delay_alu instid0(VALU_DEP_3)
	v_add_co_u32 v10, s2, s20, v8
	s_wait_alu 0xf1ff
	v_add_co_ci_u32_e64 v11, null, s21, v9, s2
	v_subrev_nc_u32_e32 v13, s6, v2
	v_cmp_le_u32_e64 s2, s6, v2
	s_or_b32 s7, vcc_lo, s7
	v_cndmask_b32_e64 v2, v2, v13, s2
	v_add_co_u32 v8, s2, s22, v8
	s_wait_alu 0xf1ff
	v_add_co_ci_u32_e64 v9, null, s23, v9, s2
	s_delay_alu instid0(VALU_DEP_3)
	v_mad_co_u64_u32 v[12:13], null, v15, s26, v[2:3]
	v_lshl_add_u32 v2, v15, 1, v14
	global_store_b32 v[8:9], v2, off
	global_store_b32 v[10:11], v12, off
	s_wait_alu 0xfffe
	s_and_not1_b32 exec_lo, exec_lo, s7
	s_cbranch_execnz .LBB0_13
.LBB0_14:
	s_wait_alu 0xfffe
	s_or_b32 exec_lo, exec_lo, s3
	s_delay_alu instid0(SALU_CYCLE_1)
	s_mov_b32 s2, exec_lo
	v_cmpx_eq_u32_e32 0, v0
	s_cbranch_execz .LBB0_17
; %bb.15:
	s_load_b32 s0, s[0:1], 0x38
	s_mov_b32 s2, ttmp9
	s_ashr_i32 s3, ttmp9, 31
	s_wait_dscnt 0x0
	v_dual_mov_b32 v0, 0 :: v_dual_add_nc_u32 v1, v4, v3
	s_wait_alu 0xfffe
	s_lshl_b64 s[2:3], s[2:3], 2
	s_wait_kmcnt 0x0
	s_wait_alu 0xfffe
	s_add_nc_u64 s[2:3], s[4:5], s[2:3]
	global_store_b32 v0, v1, s[2:3]
	s_add_co_i32 s1, s0, -1
	s_wait_alu 0xfffe
	s_cmp_lt_i32 ttmp9, s1
	s_cbranch_scc1 .LBB0_17
; %bb.16:
	s_mov_b32 s1, 0
	v_add_nc_u32_e32 v1, v1, v5
	s_wait_alu 0xfffe
	s_lshl_b64 s[0:1], s[0:1], 2
	s_wait_alu 0xfffe
	s_add_nc_u64 s[0:1], s[4:5], s[0:1]
	global_store_b32 v0, v1, s[0:1]
.LBB0_17:
	s_endpgm
	.section	.rodata,"a",@progbits
	.p2align	6, 0x0
	.amdhsa_kernel _ZL13mm_ids_helperILi2EEvPKiPiS2_S2_iiiii
		.amdhsa_group_segment_fixed_size 0
		.amdhsa_private_segment_fixed_size 0
		.amdhsa_kernarg_size 312
		.amdhsa_user_sgpr_count 2
		.amdhsa_user_sgpr_dispatch_ptr 0
		.amdhsa_user_sgpr_queue_ptr 0
		.amdhsa_user_sgpr_kernarg_segment_ptr 1
		.amdhsa_user_sgpr_dispatch_id 0
		.amdhsa_user_sgpr_private_segment_size 0
		.amdhsa_wavefront_size32 1
		.amdhsa_uses_dynamic_stack 0
		.amdhsa_enable_private_segment 0
		.amdhsa_system_sgpr_workgroup_id_x 1
		.amdhsa_system_sgpr_workgroup_id_y 0
		.amdhsa_system_sgpr_workgroup_id_z 0
		.amdhsa_system_sgpr_workgroup_info 0
		.amdhsa_system_vgpr_workitem_id 0
		.amdhsa_next_free_vgpr 43
		.amdhsa_next_free_sgpr 28
		.amdhsa_reserve_vcc 1
		.amdhsa_float_round_mode_32 0
		.amdhsa_float_round_mode_16_64 0
		.amdhsa_float_denorm_mode_32 3
		.amdhsa_float_denorm_mode_16_64 3
		.amdhsa_fp16_overflow 0
		.amdhsa_workgroup_processor_mode 1
		.amdhsa_memory_ordered 1
		.amdhsa_forward_progress 1
		.amdhsa_inst_pref_size 16
		.amdhsa_round_robin_scheduling 0
		.amdhsa_exception_fp_ieee_invalid_op 0
		.amdhsa_exception_fp_denorm_src 0
		.amdhsa_exception_fp_ieee_div_zero 0
		.amdhsa_exception_fp_ieee_overflow 0
		.amdhsa_exception_fp_ieee_underflow 0
		.amdhsa_exception_fp_ieee_inexact 0
		.amdhsa_exception_int_div_zero 0
	.end_amdhsa_kernel
	.section	.text._ZL13mm_ids_helperILi2EEvPKiPiS2_S2_iiiii,"axG",@progbits,_ZL13mm_ids_helperILi2EEvPKiPiS2_S2_iiiii,comdat
.Lfunc_end0:
	.size	_ZL13mm_ids_helperILi2EEvPKiPiS2_S2_iiiii, .Lfunc_end0-_ZL13mm_ids_helperILi2EEvPKiPiS2_S2_iiiii
                                        ; -- End function
	.set _ZL13mm_ids_helperILi2EEvPKiPiS2_S2_iiiii.num_vgpr, 43
	.set _ZL13mm_ids_helperILi2EEvPKiPiS2_S2_iiiii.num_agpr, 0
	.set _ZL13mm_ids_helperILi2EEvPKiPiS2_S2_iiiii.numbered_sgpr, 28
	.set _ZL13mm_ids_helperILi2EEvPKiPiS2_S2_iiiii.num_named_barrier, 0
	.set _ZL13mm_ids_helperILi2EEvPKiPiS2_S2_iiiii.private_seg_size, 0
	.set _ZL13mm_ids_helperILi2EEvPKiPiS2_S2_iiiii.uses_vcc, 1
	.set _ZL13mm_ids_helperILi2EEvPKiPiS2_S2_iiiii.uses_flat_scratch, 0
	.set _ZL13mm_ids_helperILi2EEvPKiPiS2_S2_iiiii.has_dyn_sized_stack, 0
	.set _ZL13mm_ids_helperILi2EEvPKiPiS2_S2_iiiii.has_recursion, 0
	.set _ZL13mm_ids_helperILi2EEvPKiPiS2_S2_iiiii.has_indirect_call, 0
	.section	.AMDGPU.csdata,"",@progbits
; Kernel info:
; codeLenInByte = 1964
; TotalNumSgprs: 30
; NumVgprs: 43
; ScratchSize: 0
; MemoryBound: 0
; FloatMode: 240
; IeeeMode: 1
; LDSByteSize: 0 bytes/workgroup (compile time only)
; SGPRBlocks: 0
; VGPRBlocks: 5
; NumSGPRsForWavesPerEU: 30
; NumVGPRsForWavesPerEU: 43
; Occupancy: 16
; WaveLimiterHint : 0
; COMPUTE_PGM_RSRC2:SCRATCH_EN: 0
; COMPUTE_PGM_RSRC2:USER_SGPR: 2
; COMPUTE_PGM_RSRC2:TRAP_HANDLER: 0
; COMPUTE_PGM_RSRC2:TGID_X_EN: 1
; COMPUTE_PGM_RSRC2:TGID_Y_EN: 0
; COMPUTE_PGM_RSRC2:TGID_Z_EN: 0
; COMPUTE_PGM_RSRC2:TIDIG_COMP_CNT: 0
	.section	.text._ZL13mm_ids_helperILi4EEvPKiPiS2_S2_iiiii,"axG",@progbits,_ZL13mm_ids_helperILi4EEvPKiPiS2_S2_iiiii,comdat
	.globl	_ZL13mm_ids_helperILi4EEvPKiPiS2_S2_iiiii ; -- Begin function _ZL13mm_ids_helperILi4EEvPKiPiS2_S2_iiiii
	.p2align	8
	.type	_ZL13mm_ids_helperILi4EEvPKiPiS2_S2_iiiii,@function
_ZL13mm_ids_helperILi4EEvPKiPiS2_S2_iiiii: ; @_ZL13mm_ids_helperILi4EEvPKiPiS2_S2_iiiii
; %bb.0:
	s_load_b32 s19, s[0:1], 0x20
	v_mbcnt_lo_u32_b32 v6, -1, 0
	s_mov_b32 s2, 0
	s_wait_kmcnt 0x0
	s_cmp_gt_i32 s19, 0
	s_cbranch_scc1 .LBB1_2
; %bb.1:
	v_mbcnt_lo_u32_b32 v1, -1, 0
	v_mov_b32_e32 v7, 0
	s_delay_alu instid0(VALU_DEP_2)
	v_xor_b32_e32 v4, 2, v1
	v_xor_b32_e32 v5, 1, v1
	s_branch .LBB1_3
.LBB1_2:
	s_mov_b32 s2, -1
                                        ; implicit-def: $vgpr1
                                        ; implicit-def: $vgpr7
                                        ; implicit-def: $vgpr4
                                        ; implicit-def: $vgpr5
.LBB1_3:
	s_clause 0x1
	s_load_b128 s[12:15], s[0:1], 0x8
	s_load_b96 s[16:18], s[0:1], 0x28
	v_dual_mov_b32 v8, 0 :: v_dual_mov_b32 v3, 0
	s_and_not1_b32 vcc_lo, exec_lo, s2
	s_cbranch_vccnz .LBB1_11
; %bb.4:
	v_xor_b32_e32 v4, 2, v6
	v_and_b32_e32 v1, 28, v6
	v_xor_b32_e32 v5, 1, v6
	v_add_nc_u32_e32 v3, -4, v6
	s_load_b64 s[10:11], s[0:1], 0x0
	s_delay_alu instid0(VALU_DEP_3)
	v_dual_mov_b32 v7, 0 :: v_dual_add_nc_u32 v2, 4, v1
	v_lshrrev_b32_e32 v9, 2, v0
	v_cmp_gt_u32_e64 s2, 4, v0
	v_cmp_gt_u32_e64 s3, 8, v0
	;; [unrolled: 1-line block ×3, first 2 shown]
	v_cmp_lt_i32_e32 vcc_lo, v4, v2
	v_cmp_gt_u32_e64 s5, 16, v0
	v_cmp_gt_u32_e64 s6, 20, v0
	;; [unrolled: 1-line block ×4, first 2 shown]
	v_cndmask_b32_e32 v8, v6, v4, vcc_lo
	v_cmp_lt_i32_e32 vcc_lo, v5, v2
	v_and_b32_e32 v1, 3, v0
	v_mov_b32_e32 v13, 0x7c
	s_delay_alu instid0(VALU_DEP_4) | instskip(SKIP_4) | instid1(VALU_DEP_3)
	v_dual_mov_b32 v21, 0 :: v_dual_lshlrev_b32 v10, 2, v8
	s_wait_alu 0xfffd
	v_cndmask_b32_e32 v2, v6, v5, vcc_lo
	v_cmp_gt_i32_e32 vcc_lo, 0, v3
	v_add_nc_u32_e32 v8, -16, v6
	v_lshlrev_b32_e32 v11, 2, v2
	s_wait_alu 0xfffd
	v_cndmask_b32_e32 v3, v3, v6, vcc_lo
	v_add_nc_u32_e32 v2, -8, v6
	s_delay_alu instid0(VALU_DEP_2) | instskip(SKIP_1) | instid1(VALU_DEP_3)
	v_lshlrev_b32_e32 v14, 2, v3
	v_add_nc_u32_e32 v3, -12, v6
	v_cmp_gt_i32_e32 vcc_lo, 0, v2
	s_wait_alu 0xfffd
	v_cndmask_b32_e32 v2, v2, v6, vcc_lo
	s_delay_alu instid0(VALU_DEP_3) | instskip(SKIP_1) | instid1(VALU_DEP_3)
	v_cmp_gt_i32_e32 vcc_lo, 0, v3
	v_lshlrev_b32_e32 v12, 22, v1
	v_lshlrev_b32_e32 v15, 2, v2
	s_wait_alu 0xfffd
	v_cndmask_b32_e32 v3, v3, v6, vcc_lo
	v_cmp_gt_i32_e32 vcc_lo, 0, v8
	s_delay_alu instid0(VALU_DEP_2) | instskip(SKIP_4) | instid1(VALU_DEP_3)
	v_lshlrev_b32_e32 v16, 2, v3
	s_wait_alu 0xfffd
	v_cndmask_b32_e32 v2, v8, v6, vcc_lo
	v_subrev_nc_u32_e32 v3, 20, v6
	v_subrev_nc_u32_e32 v8, 28, v6
	v_lshlrev_b32_e32 v17, 2, v2
	v_subrev_nc_u32_e32 v2, 24, v6
	s_delay_alu instid0(VALU_DEP_4) | instskip(SKIP_2) | instid1(VALU_DEP_3)
	v_cmp_gt_i32_e32 vcc_lo, 0, v3
	s_wait_alu 0xfffd
	v_cndmask_b32_e32 v3, v3, v6, vcc_lo
	v_cmp_gt_i32_e32 vcc_lo, 0, v2
	s_delay_alu instid0(VALU_DEP_2) | instskip(SKIP_4) | instid1(VALU_DEP_3)
	v_lshlrev_b32_e32 v18, 2, v3
	s_wait_alu 0xfffd
	v_cndmask_b32_e32 v2, v2, v6, vcc_lo
	v_cmp_gt_i32_e32 vcc_lo, 0, v8
	v_mov_b32_e32 v3, 0
	v_lshlrev_b32_e32 v19, 2, v2
	s_wait_alu 0xfffd
	v_cndmask_b32_e32 v8, v8, v6, vcc_lo
	s_wait_kmcnt 0x0
	v_mad_co_u64_u32 v[1:2], null, s17, v9, v[1:2]
	s_lshl_b32 s17, s17, 3
	v_lshlrev_b32_e32 v20, 2, v8
	v_mov_b32_e32 v8, 0
	s_branch .LBB1_6
.LBB1_5:                                ;   in Loop: Header=BB1_6 Depth=1
	s_wait_alu 0xfffe
	s_or_b32 exec_lo, exec_lo, s9
	v_add_nc_u32_e32 v22, v24, v23
	v_add_nc_u32_e32 v21, 8, v21
	v_cmp_gt_i32_e64 s9, ttmp9, v2
	v_add_nc_u32_e32 v1, s17, v1
	ds_bpermute_b32 v22, v13, v22
	v_cmp_le_i32_e32 vcc_lo, s19, v21
	s_wait_alu 0xf1ff
	v_add_co_ci_u32_e64 v8, null, 0, v8, s9
	s_wait_dscnt 0x0
	v_add_nc_u32_e32 v3, v22, v3
	s_cbranch_vccnz .LBB1_10
.LBB1_6:                                ; =>This Inner Loop Header: Depth=1
	v_add_nc_u32_e32 v22, v9, v21
	v_bfrev_b32_e32 v2, -2
	s_mov_b32 s9, exec_lo
	s_delay_alu instid0(VALU_DEP_2)
	v_cmpx_gt_i32_e64 s19, v22
	s_cbranch_execz .LBB1_8
; %bb.7:                                ;   in Loop: Header=BB1_6 Depth=1
	v_ashrrev_i32_e32 v2, 31, v1
	s_delay_alu instid0(VALU_DEP_1) | instskip(NEXT) | instid1(VALU_DEP_1)
	v_lshlrev_b64_e32 v[23:24], 2, v[1:2]
	v_add_co_u32 v23, vcc_lo, s10, v23
	s_wait_alu 0xfffd
	s_delay_alu instid0(VALU_DEP_2)
	v_add_co_ci_u32_e64 v24, null, s11, v24, vcc_lo
	global_load_b32 v2, v[23:24], off
.LBB1_8:                                ;   in Loop: Header=BB1_6 Depth=1
	s_wait_alu 0xfffe
	s_or_b32 exec_lo, exec_lo, s9
	s_wait_loadcnt 0x0
	v_cmp_eq_u32_e32 vcc_lo, ttmp9, v2
	s_wait_alu 0xfffd
	v_cndmask_b32_e64 v23, 0, 1, vcc_lo
	ds_bpermute_b32 v24, v10, v23
	s_wait_dscnt 0x0
	v_or_b32_e32 v23, v24, v23
	s_delay_alu instid0(VALU_DEP_1) | instskip(SKIP_1) | instid1(VALU_DEP_1)
	v_cmp_ne_u32_e64 s9, 0, v23
	s_wait_alu 0xf1ff
	v_cndmask_b32_e64 v24, 0, 1, s9
	ds_bpermute_b32 v24, v11, v24
	s_wait_dscnt 0x0
	v_or_b32_e32 v23, v24, v23
	s_delay_alu instid0(VALU_DEP_1) | instskip(SKIP_1) | instid1(VALU_DEP_1)
	v_cmp_ne_u32_e64 s9, 0, v23
	s_wait_alu 0xf1ff
	v_cndmask_b32_e64 v23, 0, 1, s9
	ds_bpermute_b32 v24, v14, v23
	ds_bpermute_b32 v25, v15, v23
	ds_bpermute_b32 v26, v16, v23
	ds_bpermute_b32 v27, v17, v23
	ds_bpermute_b32 v28, v18, v23
	ds_bpermute_b32 v29, v19, v23
	ds_bpermute_b32 v30, v20, v23
	s_wait_dscnt 0x6
	v_cndmask_b32_e64 v24, v24, 0, s2
	s_wait_dscnt 0x5
	v_cndmask_b32_e64 v25, v25, 0, s3
	;; [unrolled: 2-line block ×5, first 2 shown]
	v_add3_u32 v24, v25, v24, v26
	s_wait_dscnt 0x1
	v_cndmask_b32_e64 v25, v29, 0, s7
	s_wait_dscnt 0x0
	v_cndmask_b32_e64 v26, v30, 0, s8
	v_add3_u32 v24, v27, v24, v28
	s_delay_alu instid0(VALU_DEP_1)
	v_add3_u32 v24, v25, v24, v26
	s_and_saveexec_b32 s9, vcc_lo
	s_cbranch_execz .LBB1_5
; %bb.9:                                ;   in Loop: Header=BB1_6 Depth=1
	v_lshlrev_b32_e32 v25, 2, v3
	s_delay_alu instid0(VALU_DEP_2) | instskip(SKIP_1) | instid1(VALU_DEP_2)
	v_lshlrev_b32_e32 v26, 2, v24
	v_and_or_b32 v22, 0x3fffff, v22, v12
	v_add3_u32 v25, 0, v25, v26
	ds_store_b32 v25, v22
	s_branch .LBB1_5
.LBB1_10:
	v_mov_b32_e32 v1, v6
.LBB1_11:
	s_delay_alu instid0(VALU_DEP_1)
	v_xor_b32_e32 v2, 16, v1
	v_xor_b32_e32 v9, 4, v1
	v_add_nc_u32_e32 v10, 32, v7
	v_xor_b32_e32 v6, 8, v1
	s_load_b64 s[4:5], s[0:1], 0x18
	s_mov_b32 s3, exec_lo
	s_delay_alu instid0(VALU_DEP_2)
	v_cmp_lt_i32_e32 vcc_lo, v2, v10
	s_wait_alu 0xfffd
	v_cndmask_b32_e32 v2, v1, v2, vcc_lo
	v_cmp_lt_i32_e32 vcc_lo, v6, v10
	s_wait_alu 0xfffd
	v_cndmask_b32_e32 v6, v1, v6, vcc_lo
	;; [unrolled: 3-line block ×3, first 2 shown]
	v_cmp_lt_i32_e32 vcc_lo, v4, v10
	s_wait_alu 0xfffd
	s_delay_alu instid0(VALU_DEP_2)
	v_dual_cndmask_b32 v4, v1, v4 :: v_dual_lshlrev_b32 v9, 2, v9
	v_cmp_lt_i32_e32 vcc_lo, v5, v10
	s_wait_alu 0xfffd
	v_dual_cndmask_b32 v1, v1, v5 :: v_dual_lshlrev_b32 v2, 2, v2
	ds_bpermute_b32 v2, v2, v8
	v_lshlrev_b32_e32 v1, 2, v1
	s_wait_dscnt 0x0
	v_add_nc_u32_e32 v7, v2, v8
	v_lshlrev_b32_e32 v6, 2, v6
	ds_bpermute_b32 v6, v6, v7
	s_wait_dscnt 0x0
	v_add_nc_u32_e32 v11, v6, v7
	ds_bpermute_b32 v7, v9, v11
	s_wait_dscnt 0x0
	v_add_nc_u32_e32 v11, v7, v11
	v_lshlrev_b32_e32 v4, 2, v4
	ds_bpermute_b32 v9, v4, v11
	s_wait_dscnt 0x0
	v_add_nc_u32_e32 v4, v9, v11
	ds_bpermute_b32 v5, v1, v4
	v_cmpx_lt_i32_e64 v0, v3
	s_cbranch_execz .LBB1_14
; %bb.12:
	s_wait_kmcnt 0x0
	s_abs_i32 s6, s16
	s_wait_alu 0xfffe
	s_cvt_f32_u32 s2, s6
	s_sub_co_i32 s7, 0, s6
	s_wait_alu 0xfffe
	s_delay_alu instid0(SALU_CYCLE_1) | instskip(NEXT) | instid1(TRANS32_DEP_1)
	v_rcp_iflag_f32_e32 v1, s2
	v_readfirstlane_b32 s2, v1
	v_add3_u32 v1, v2, v6, v7
	v_lshl_add_u32 v6, v0, 2, 0
	v_mov_b32_e32 v7, v0
	s_mul_f32 s2, s2, 0x4f7ffffe
	s_wait_dscnt 0x0
	v_add3_u32 v1, v1, v9, v5
	s_wait_alu 0xfffe
	s_cvt_u32_f32 s2, s2
	s_delay_alu instid0(VALU_DEP_1) | instskip(SKIP_1) | instid1(SALU_CYCLE_1)
	v_add3_u32 v1, v1, v0, v8
	s_wait_alu 0xfffe
	s_mul_i32 s7, s7, s2
	s_wait_alu 0xfffe
	s_mul_hi_u32 s8, s2, s7
	s_mov_b32 s7, 0
	s_wait_alu 0xfffe
	s_add_co_i32 s8, s2, s8
.LBB1_13:                               ; =>This Inner Loop Header: Depth=1
	ds_load_b32 v12, v6
	v_add_nc_u32_e32 v7, 32, v7
	v_add_nc_u32_e32 v6, 0x80, v6
	s_wait_dscnt 0x0
	v_lshrrev_b32_e32 v14, 22, v12
	v_and_b32_e32 v15, 0x3fffff, v12
	s_wait_alu 0xfffe
	s_delay_alu instid0(VALU_DEP_2) | instskip(NEXT) | instid1(VALU_DEP_1)
	v_mul_hi_u32 v2, v14, s8
	v_mul_lo_u32 v2, v2, s6
	s_delay_alu instid0(VALU_DEP_1) | instskip(SKIP_1) | instid1(VALU_DEP_2)
	v_sub_nc_u32_e32 v10, v14, v2
	v_ashrrev_i32_e32 v2, 31, v1
	v_subrev_nc_u32_e32 v11, s6, v10
	v_cmp_le_u32_e32 vcc_lo, s6, v10
	s_delay_alu instid0(VALU_DEP_3) | instskip(SKIP_1) | instid1(VALU_DEP_3)
	v_lshlrev_b64_e32 v[8:9], 2, v[1:2]
	s_wait_alu 0xfffd
	v_dual_cndmask_b32 v2, v10, v11 :: v_dual_add_nc_u32 v1, 32, v1
	v_cmp_ge_i32_e32 vcc_lo, v7, v3
	s_delay_alu instid0(VALU_DEP_3)
	v_add_co_u32 v10, s2, s12, v8
	s_wait_alu 0xf1ff
	v_add_co_ci_u32_e64 v11, null, s13, v9, s2
	v_subrev_nc_u32_e32 v13, s6, v2
	v_cmp_le_u32_e64 s2, s6, v2
	s_or_b32 s7, vcc_lo, s7
	v_cndmask_b32_e64 v2, v2, v13, s2
	v_add_co_u32 v8, s2, s14, v8
	s_wait_alu 0xf1ff
	v_add_co_ci_u32_e64 v9, null, s15, v9, s2
	s_delay_alu instid0(VALU_DEP_3)
	v_mad_co_u64_u32 v[12:13], null, v15, s18, v[2:3]
	v_lshl_add_u32 v2, v15, 2, v14
	global_store_b32 v[8:9], v2, off
	global_store_b32 v[10:11], v12, off
	s_wait_alu 0xfffe
	s_and_not1_b32 exec_lo, exec_lo, s7
	s_cbranch_execnz .LBB1_13
.LBB1_14:
	s_wait_alu 0xfffe
	s_or_b32 exec_lo, exec_lo, s3
	s_delay_alu instid0(SALU_CYCLE_1)
	s_mov_b32 s2, exec_lo
	v_cmpx_eq_u32_e32 0, v0
	s_cbranch_execz .LBB1_17
; %bb.15:
	s_load_b32 s0, s[0:1], 0x38
	s_mov_b32 s2, ttmp9
	s_ashr_i32 s3, ttmp9, 31
	s_wait_dscnt 0x0
	v_dual_mov_b32 v0, 0 :: v_dual_add_nc_u32 v1, v5, v4
	s_wait_alu 0xfffe
	s_lshl_b64 s[2:3], s[2:3], 2
	s_wait_kmcnt 0x0
	s_wait_alu 0xfffe
	s_add_nc_u64 s[2:3], s[4:5], s[2:3]
	global_store_b32 v0, v1, s[2:3]
	s_add_co_i32 s1, s0, -1
	s_wait_alu 0xfffe
	s_cmp_lt_i32 ttmp9, s1
	s_cbranch_scc1 .LBB1_17
; %bb.16:
	s_mov_b32 s1, 0
	v_add_nc_u32_e32 v1, v1, v3
	s_wait_alu 0xfffe
	s_lshl_b64 s[0:1], s[0:1], 2
	s_wait_alu 0xfffe
	s_add_nc_u64 s[0:1], s[4:5], s[0:1]
	global_store_b32 v0, v1, s[0:1]
.LBB1_17:
	s_endpgm
	.section	.rodata,"a",@progbits
	.p2align	6, 0x0
	.amdhsa_kernel _ZL13mm_ids_helperILi4EEvPKiPiS2_S2_iiiii
		.amdhsa_group_segment_fixed_size 0
		.amdhsa_private_segment_fixed_size 0
		.amdhsa_kernarg_size 312
		.amdhsa_user_sgpr_count 2
		.amdhsa_user_sgpr_dispatch_ptr 0
		.amdhsa_user_sgpr_queue_ptr 0
		.amdhsa_user_sgpr_kernarg_segment_ptr 1
		.amdhsa_user_sgpr_dispatch_id 0
		.amdhsa_user_sgpr_private_segment_size 0
		.amdhsa_wavefront_size32 1
		.amdhsa_uses_dynamic_stack 0
		.amdhsa_enable_private_segment 0
		.amdhsa_system_sgpr_workgroup_id_x 1
		.amdhsa_system_sgpr_workgroup_id_y 0
		.amdhsa_system_sgpr_workgroup_id_z 0
		.amdhsa_system_sgpr_workgroup_info 0
		.amdhsa_system_vgpr_workitem_id 0
		.amdhsa_next_free_vgpr 31
		.amdhsa_next_free_sgpr 20
		.amdhsa_reserve_vcc 1
		.amdhsa_float_round_mode_32 0
		.amdhsa_float_round_mode_16_64 0
		.amdhsa_float_denorm_mode_32 3
		.amdhsa_float_denorm_mode_16_64 3
		.amdhsa_fp16_overflow 0
		.amdhsa_workgroup_processor_mode 1
		.amdhsa_memory_ordered 1
		.amdhsa_forward_progress 1
		.amdhsa_inst_pref_size 13
		.amdhsa_round_robin_scheduling 0
		.amdhsa_exception_fp_ieee_invalid_op 0
		.amdhsa_exception_fp_denorm_src 0
		.amdhsa_exception_fp_ieee_div_zero 0
		.amdhsa_exception_fp_ieee_overflow 0
		.amdhsa_exception_fp_ieee_underflow 0
		.amdhsa_exception_fp_ieee_inexact 0
		.amdhsa_exception_int_div_zero 0
	.end_amdhsa_kernel
	.section	.text._ZL13mm_ids_helperILi4EEvPKiPiS2_S2_iiiii,"axG",@progbits,_ZL13mm_ids_helperILi4EEvPKiPiS2_S2_iiiii,comdat
.Lfunc_end1:
	.size	_ZL13mm_ids_helperILi4EEvPKiPiS2_S2_iiiii, .Lfunc_end1-_ZL13mm_ids_helperILi4EEvPKiPiS2_S2_iiiii
                                        ; -- End function
	.set _ZL13mm_ids_helperILi4EEvPKiPiS2_S2_iiiii.num_vgpr, 31
	.set _ZL13mm_ids_helperILi4EEvPKiPiS2_S2_iiiii.num_agpr, 0
	.set _ZL13mm_ids_helperILi4EEvPKiPiS2_S2_iiiii.numbered_sgpr, 20
	.set _ZL13mm_ids_helperILi4EEvPKiPiS2_S2_iiiii.num_named_barrier, 0
	.set _ZL13mm_ids_helperILi4EEvPKiPiS2_S2_iiiii.private_seg_size, 0
	.set _ZL13mm_ids_helperILi4EEvPKiPiS2_S2_iiiii.uses_vcc, 1
	.set _ZL13mm_ids_helperILi4EEvPKiPiS2_S2_iiiii.uses_flat_scratch, 0
	.set _ZL13mm_ids_helperILi4EEvPKiPiS2_S2_iiiii.has_dyn_sized_stack, 0
	.set _ZL13mm_ids_helperILi4EEvPKiPiS2_S2_iiiii.has_recursion, 0
	.set _ZL13mm_ids_helperILi4EEvPKiPiS2_S2_iiiii.has_indirect_call, 0
	.section	.AMDGPU.csdata,"",@progbits
; Kernel info:
; codeLenInByte = 1600
; TotalNumSgprs: 22
; NumVgprs: 31
; ScratchSize: 0
; MemoryBound: 0
; FloatMode: 240
; IeeeMode: 1
; LDSByteSize: 0 bytes/workgroup (compile time only)
; SGPRBlocks: 0
; VGPRBlocks: 3
; NumSGPRsForWavesPerEU: 22
; NumVGPRsForWavesPerEU: 31
; Occupancy: 16
; WaveLimiterHint : 0
; COMPUTE_PGM_RSRC2:SCRATCH_EN: 0
; COMPUTE_PGM_RSRC2:USER_SGPR: 2
; COMPUTE_PGM_RSRC2:TRAP_HANDLER: 0
; COMPUTE_PGM_RSRC2:TGID_X_EN: 1
; COMPUTE_PGM_RSRC2:TGID_Y_EN: 0
; COMPUTE_PGM_RSRC2:TGID_Z_EN: 0
; COMPUTE_PGM_RSRC2:TIDIG_COMP_CNT: 0
	.section	.text._ZL13mm_ids_helperILi6EEvPKiPiS2_S2_iiiii,"axG",@progbits,_ZL13mm_ids_helperILi6EEvPKiPiS2_S2_iiiii,comdat
	.globl	_ZL13mm_ids_helperILi6EEvPKiPiS2_S2_iiiii ; -- Begin function _ZL13mm_ids_helperILi6EEvPKiPiS2_S2_iiiii
	.p2align	8
	.type	_ZL13mm_ids_helperILi6EEvPKiPiS2_S2_iiiii,@function
_ZL13mm_ids_helperILi6EEvPKiPiS2_S2_iiiii: ; @_ZL13mm_ids_helperILi6EEvPKiPiS2_S2_iiiii
; %bb.0:
	s_load_b32 s7, s[0:1], 0x20
	v_mbcnt_lo_u32_b32 v7, -1, 0
	s_mov_b32 s2, 0
	s_wait_kmcnt 0x0
	s_cmp_gt_i32 s7, 0
	s_cbranch_scc1 .LBB2_2
; %bb.1:
	v_mbcnt_lo_u32_b32 v1, -1, 0
	v_mov_b32_e32 v8, 0
	s_delay_alu instid0(VALU_DEP_2)
	v_xor_b32_e32 v4, 4, v1
	v_xor_b32_e32 v5, 2, v1
	;; [unrolled: 1-line block ×3, first 2 shown]
	s_branch .LBB2_3
.LBB2_2:
	s_mov_b32 s2, -1
                                        ; implicit-def: $vgpr1
                                        ; implicit-def: $vgpr8
                                        ; implicit-def: $vgpr4
                                        ; implicit-def: $vgpr5
                                        ; implicit-def: $vgpr6
.LBB2_3:
	s_clause 0x1
	s_load_b128 s[8:11], s[0:1], 0x8
	s_load_b96 s[12:14], s[0:1], 0x28
	v_mov_b32_e32 v9, 0
	v_mov_b32_e32 v3, 0
	s_and_not1_b32 vcc_lo, exec_lo, s2
	s_cbranch_vccnz .LBB2_11
; %bb.4:
	v_xor_b32_e32 v6, 1, v7
	v_and_b32_e32 v1, 24, v7
	v_xor_b32_e32 v4, 4, v7
	v_xor_b32_e32 v5, 2, v7
	s_load_b64 s[16:17], s[0:1], 0x0
	v_mov_b32_e32 v8, 0
	v_add_nc_u32_e32 v2, 8, v1
	v_and_b32_e32 v1, 7, v0
	v_lshrrev_b32_e32 v10, 3, v0
	v_cmp_gt_u32_e64 s3, 8, v0
	v_cmp_gt_u32_e64 s4, 16, v0
	v_cmp_lt_i32_e32 vcc_lo, v4, v2
	v_cmp_gt_u32_e64 s2, 6, v1
	v_cmp_gt_u32_e64 s5, 24, v0
	v_mov_b32_e32 v19, 0
	v_mov_b32_e32 v15, 0x7c
	v_cndmask_b32_e32 v3, v7, v4, vcc_lo
	v_cmp_lt_i32_e32 vcc_lo, v5, v2
	s_delay_alu instid0(VALU_DEP_2)
	v_lshlrev_b32_e32 v11, 2, v3
	s_wait_alu 0xfffd
	v_cndmask_b32_e32 v9, v7, v5, vcc_lo
	v_cmp_lt_i32_e32 vcc_lo, v6, v2
	s_wait_alu 0xfffd
	v_dual_cndmask_b32 v2, v7, v6 :: v_dual_add_nc_u32 v3, -16, v7
	s_delay_alu instid0(VALU_DEP_1) | instskip(SKIP_3) | instid1(VALU_DEP_3)
	v_lshlrev_b32_e32 v13, 2, v2
	v_add_nc_u32_e32 v2, -8, v7
	v_lshlrev_b32_e32 v12, 2, v9
	v_subrev_nc_u32_e32 v9, 24, v7
	v_cmp_gt_i32_e32 vcc_lo, 0, v2
	s_wait_alu 0xfffd
	v_cndmask_b32_e32 v2, v2, v7, vcc_lo
	v_cmp_gt_i32_e32 vcc_lo, 0, v3
	v_lshlrev_b32_e32 v14, 22, v1
	s_wait_alu 0xfffd
	s_delay_alu instid0(VALU_DEP_3)
	v_dual_cndmask_b32 v3, v3, v7 :: v_dual_lshlrev_b32 v16, 2, v2
	v_cmp_gt_i32_e32 vcc_lo, 0, v9
	s_wait_kmcnt 0x0
	v_mad_co_u64_u32 v[1:2], null, s13, v10, v[1:2]
	s_lshl_b32 s13, s13, 2
	v_lshlrev_b32_e32 v17, 2, v3
	s_wait_alu 0xfffd
	v_cndmask_b32_e32 v9, v9, v7, vcc_lo
	s_delay_alu instid0(VALU_DEP_1)
	v_dual_mov_b32 v3, 0 :: v_dual_lshlrev_b32 v18, 2, v9
	v_mov_b32_e32 v9, 0
	s_branch .LBB2_6
.LBB2_5:                                ;   in Loop: Header=BB2_6 Depth=1
	s_wait_alu 0xfffe
	s_or_b32 exec_lo, exec_lo, s6
	v_add_nc_u32_e32 v20, v22, v21
	v_add_nc_u32_e32 v19, 4, v19
	v_cmp_gt_i32_e64 s6, ttmp9, v2
	v_add_nc_u32_e32 v1, s13, v1
	ds_bpermute_b32 v20, v15, v20
	v_cmp_le_i32_e32 vcc_lo, s7, v19
	s_wait_alu 0xf1ff
	v_add_co_ci_u32_e64 v9, null, 0, v9, s6
	s_wait_dscnt 0x0
	v_add_nc_u32_e32 v3, v20, v3
	s_cbranch_vccnz .LBB2_10
.LBB2_6:                                ; =>This Inner Loop Header: Depth=1
	v_add_nc_u32_e32 v20, v10, v19
	v_bfrev_b32_e32 v2, -2
	s_delay_alu instid0(VALU_DEP_2) | instskip(SKIP_1) | instid1(SALU_CYCLE_1)
	v_cmp_gt_i32_e32 vcc_lo, s7, v20
	s_and_b32 s15, s2, vcc_lo
	s_and_saveexec_b32 s6, s15
	s_cbranch_execz .LBB2_8
; %bb.7:                                ;   in Loop: Header=BB2_6 Depth=1
	v_ashrrev_i32_e32 v2, 31, v1
	s_delay_alu instid0(VALU_DEP_1) | instskip(NEXT) | instid1(VALU_DEP_1)
	v_lshlrev_b64_e32 v[21:22], 2, v[1:2]
	v_add_co_u32 v21, vcc_lo, s16, v21
	s_wait_alu 0xfffd
	s_delay_alu instid0(VALU_DEP_2)
	v_add_co_ci_u32_e64 v22, null, s17, v22, vcc_lo
	global_load_b32 v2, v[21:22], off
.LBB2_8:                                ;   in Loop: Header=BB2_6 Depth=1
	s_wait_alu 0xfffe
	s_or_b32 exec_lo, exec_lo, s6
	s_wait_loadcnt 0x0
	v_cmp_eq_u32_e32 vcc_lo, ttmp9, v2
	s_wait_alu 0xfffd
	v_cndmask_b32_e64 v21, 0, 1, vcc_lo
	ds_bpermute_b32 v22, v11, v21
	s_wait_dscnt 0x0
	v_or_b32_e32 v21, v22, v21
	s_delay_alu instid0(VALU_DEP_1) | instskip(SKIP_1) | instid1(VALU_DEP_1)
	v_cmp_ne_u32_e64 s6, 0, v21
	s_wait_alu 0xf1ff
	v_cndmask_b32_e64 v22, 0, 1, s6
	ds_bpermute_b32 v22, v12, v22
	s_wait_dscnt 0x0
	v_or_b32_e32 v21, v22, v21
	s_delay_alu instid0(VALU_DEP_1) | instskip(SKIP_1) | instid1(VALU_DEP_1)
	v_cmp_ne_u32_e64 s6, 0, v21
	s_wait_alu 0xf1ff
	v_cndmask_b32_e64 v22, 0, 1, s6
	ds_bpermute_b32 v22, v13, v22
	s_wait_dscnt 0x0
	v_or_b32_e32 v21, v22, v21
	s_delay_alu instid0(VALU_DEP_1) | instskip(SKIP_1) | instid1(VALU_DEP_1)
	v_cmp_ne_u32_e64 s6, 0, v21
	s_wait_alu 0xf1ff
	v_cndmask_b32_e64 v21, 0, 1, s6
	ds_bpermute_b32 v22, v16, v21
	ds_bpermute_b32 v23, v17, v21
	;; [unrolled: 1-line block ×3, first 2 shown]
	s_wait_dscnt 0x2
	v_cndmask_b32_e64 v22, v22, 0, s3
	s_wait_dscnt 0x1
	v_cndmask_b32_e64 v23, v23, 0, s4
	;; [unrolled: 2-line block ×3, first 2 shown]
	s_delay_alu instid0(VALU_DEP_1)
	v_add3_u32 v22, v23, v22, v24
	s_and_saveexec_b32 s6, vcc_lo
	s_cbranch_execz .LBB2_5
; %bb.9:                                ;   in Loop: Header=BB2_6 Depth=1
	v_lshlrev_b32_e32 v23, 2, v3
	s_delay_alu instid0(VALU_DEP_2) | instskip(SKIP_1) | instid1(VALU_DEP_2)
	v_lshlrev_b32_e32 v24, 2, v22
	v_and_or_b32 v20, 0x3fffff, v20, v14
	v_add3_u32 v23, 0, v23, v24
	ds_store_b32 v23, v20
	s_branch .LBB2_5
.LBB2_10:
	v_mov_b32_e32 v1, v7
.LBB2_11:
	s_delay_alu instid0(VALU_DEP_1) | instskip(SKIP_4) | instid1(VALU_DEP_2)
	v_xor_b32_e32 v2, 16, v1
	v_add_nc_u32_e32 v11, 32, v8
	v_xor_b32_e32 v7, 8, v1
	s_load_b64 s[4:5], s[0:1], 0x18
	s_mov_b32 s3, exec_lo
	v_cmp_lt_i32_e32 vcc_lo, v2, v11
	s_wait_alu 0xfffd
	v_cndmask_b32_e32 v2, v1, v2, vcc_lo
	v_cmp_lt_i32_e32 vcc_lo, v7, v11
	s_wait_alu 0xfffd
	s_delay_alu instid0(VALU_DEP_2)
	v_dual_cndmask_b32 v7, v1, v7 :: v_dual_lshlrev_b32 v2, 2, v2
	v_cmp_lt_i32_e32 vcc_lo, v4, v11
	ds_bpermute_b32 v2, v2, v9
	s_wait_alu 0xfffd
	v_dual_cndmask_b32 v4, v1, v4 :: v_dual_lshlrev_b32 v7, 2, v7
	v_cmp_lt_i32_e32 vcc_lo, v5, v11
	s_delay_alu instid0(VALU_DEP_2)
	v_lshlrev_b32_e32 v4, 2, v4
	s_wait_dscnt 0x0
	v_add_nc_u32_e32 v8, v2, v9
	ds_bpermute_b32 v7, v7, v8
	s_wait_dscnt 0x0
	v_add_nc_u32_e32 v10, v7, v8
	ds_bpermute_b32 v8, v4, v10
	s_wait_alu 0xfffd
	v_cndmask_b32_e32 v4, v1, v5, vcc_lo
	v_cmp_lt_i32_e32 vcc_lo, v6, v11
	s_wait_alu 0xfffd
	v_cndmask_b32_e32 v1, v1, v6, vcc_lo
	s_delay_alu instid0(VALU_DEP_1)
	v_lshlrev_b32_e32 v1, 2, v1
	s_wait_dscnt 0x0
	v_add_nc_u32_e32 v5, v8, v10
	v_lshlrev_b32_e32 v4, 2, v4
	ds_bpermute_b32 v10, v4, v5
	s_wait_dscnt 0x0
	v_add_nc_u32_e32 v4, v10, v5
	ds_bpermute_b32 v5, v1, v4
	v_cmpx_lt_i32_e64 v0, v3
	s_cbranch_execz .LBB2_14
; %bb.12:
	s_wait_kmcnt 0x0
	s_abs_i32 s6, s12
	v_lshl_add_u32 v6, v0, 2, 0
	s_wait_alu 0xfffe
	s_cvt_f32_u32 s2, s6
	s_sub_co_i32 s7, 0, s6
	s_wait_alu 0xfffe
	s_delay_alu instid0(SALU_CYCLE_1) | instskip(NEXT) | instid1(TRANS32_DEP_1)
	v_rcp_iflag_f32_e32 v1, s2
	v_readfirstlane_b32 s2, v1
	v_add3_u32 v1, v2, v7, v8
	v_mov_b32_e32 v7, v0
	s_mul_f32 s2, s2, 0x4f7ffffe
	s_wait_dscnt 0x0
	s_delay_alu instid0(VALU_DEP_2) | instskip(SKIP_2) | instid1(VALU_DEP_1)
	v_add3_u32 v1, v1, v10, v5
	s_wait_alu 0xfffe
	s_cvt_u32_f32 s2, s2
	v_add3_u32 v1, v1, v0, v9
	s_wait_alu 0xfffe
	s_delay_alu instid0(SALU_CYCLE_1)
	s_mul_i32 s7, s7, s2
	s_wait_alu 0xfffe
	s_mul_hi_u32 s12, s2, s7
	s_mov_b32 s7, 0
	s_wait_alu 0xfffe
	s_add_co_i32 s12, s2, s12
.LBB2_13:                               ; =>This Inner Loop Header: Depth=1
	ds_load_b32 v12, v6
	v_add_nc_u32_e32 v7, 32, v7
	v_add_nc_u32_e32 v6, 0x80, v6
	s_wait_dscnt 0x0
	v_lshrrev_b32_e32 v14, 22, v12
	v_and_b32_e32 v15, 0x3fffff, v12
	s_wait_alu 0xfffe
	s_delay_alu instid0(VALU_DEP_2) | instskip(NEXT) | instid1(VALU_DEP_1)
	v_mul_hi_u32 v2, v14, s12
	v_mul_lo_u32 v2, v2, s6
	s_delay_alu instid0(VALU_DEP_1) | instskip(SKIP_1) | instid1(VALU_DEP_2)
	v_sub_nc_u32_e32 v10, v14, v2
	v_ashrrev_i32_e32 v2, 31, v1
	v_subrev_nc_u32_e32 v11, s6, v10
	v_cmp_le_u32_e32 vcc_lo, s6, v10
	s_delay_alu instid0(VALU_DEP_3) | instskip(SKIP_1) | instid1(VALU_DEP_3)
	v_lshlrev_b64_e32 v[8:9], 2, v[1:2]
	s_wait_alu 0xfffd
	v_dual_cndmask_b32 v2, v10, v11 :: v_dual_add_nc_u32 v1, 32, v1
	v_cmp_ge_i32_e32 vcc_lo, v7, v3
	s_delay_alu instid0(VALU_DEP_3)
	v_add_co_u32 v10, s2, s8, v8
	s_wait_alu 0xf1ff
	v_add_co_ci_u32_e64 v11, null, s9, v9, s2
	v_subrev_nc_u32_e32 v13, s6, v2
	v_cmp_le_u32_e64 s2, s6, v2
	s_or_b32 s7, vcc_lo, s7
	v_cndmask_b32_e64 v2, v2, v13, s2
	v_add_co_u32 v8, s2, s10, v8
	s_wait_alu 0xf1ff
	v_add_co_ci_u32_e64 v9, null, s11, v9, s2
	s_delay_alu instid0(VALU_DEP_3)
	v_mad_co_u64_u32 v[12:13], null, v15, s14, v[2:3]
	v_mad_u32_u24 v2, v15, 6, v14
	global_store_b32 v[8:9], v2, off
	global_store_b32 v[10:11], v12, off
	s_wait_alu 0xfffe
	s_and_not1_b32 exec_lo, exec_lo, s7
	s_cbranch_execnz .LBB2_13
.LBB2_14:
	s_wait_alu 0xfffe
	s_or_b32 exec_lo, exec_lo, s3
	s_delay_alu instid0(SALU_CYCLE_1)
	s_mov_b32 s2, exec_lo
	v_cmpx_eq_u32_e32 0, v0
	s_cbranch_execz .LBB2_17
; %bb.15:
	s_load_b32 s0, s[0:1], 0x38
	s_mov_b32 s2, ttmp9
	s_ashr_i32 s3, ttmp9, 31
	s_wait_dscnt 0x0
	v_dual_mov_b32 v0, 0 :: v_dual_add_nc_u32 v1, v5, v4
	s_wait_alu 0xfffe
	s_lshl_b64 s[2:3], s[2:3], 2
	s_wait_kmcnt 0x0
	s_wait_alu 0xfffe
	s_add_nc_u64 s[2:3], s[4:5], s[2:3]
	global_store_b32 v0, v1, s[2:3]
	s_add_co_i32 s1, s0, -1
	s_wait_alu 0xfffe
	s_cmp_lt_i32 ttmp9, s1
	s_cbranch_scc1 .LBB2_17
; %bb.16:
	s_mov_b32 s1, 0
	v_add_nc_u32_e32 v1, v1, v3
	s_wait_alu 0xfffe
	s_lshl_b64 s[0:1], s[0:1], 2
	s_wait_alu 0xfffe
	s_add_nc_u64 s[0:1], s[4:5], s[0:1]
	global_store_b32 v0, v1, s[0:1]
.LBB2_17:
	s_endpgm
	.section	.rodata,"a",@progbits
	.p2align	6, 0x0
	.amdhsa_kernel _ZL13mm_ids_helperILi6EEvPKiPiS2_S2_iiiii
		.amdhsa_group_segment_fixed_size 0
		.amdhsa_private_segment_fixed_size 0
		.amdhsa_kernarg_size 312
		.amdhsa_user_sgpr_count 2
		.amdhsa_user_sgpr_dispatch_ptr 0
		.amdhsa_user_sgpr_queue_ptr 0
		.amdhsa_user_sgpr_kernarg_segment_ptr 1
		.amdhsa_user_sgpr_dispatch_id 0
		.amdhsa_user_sgpr_private_segment_size 0
		.amdhsa_wavefront_size32 1
		.amdhsa_uses_dynamic_stack 0
		.amdhsa_enable_private_segment 0
		.amdhsa_system_sgpr_workgroup_id_x 1
		.amdhsa_system_sgpr_workgroup_id_y 0
		.amdhsa_system_sgpr_workgroup_id_z 0
		.amdhsa_system_sgpr_workgroup_info 0
		.amdhsa_system_vgpr_workitem_id 0
		.amdhsa_next_free_vgpr 25
		.amdhsa_next_free_sgpr 18
		.amdhsa_reserve_vcc 1
		.amdhsa_float_round_mode_32 0
		.amdhsa_float_round_mode_16_64 0
		.amdhsa_float_denorm_mode_32 3
		.amdhsa_float_denorm_mode_16_64 3
		.amdhsa_fp16_overflow 0
		.amdhsa_workgroup_processor_mode 1
		.amdhsa_memory_ordered 1
		.amdhsa_forward_progress 1
		.amdhsa_inst_pref_size 12
		.amdhsa_round_robin_scheduling 0
		.amdhsa_exception_fp_ieee_invalid_op 0
		.amdhsa_exception_fp_denorm_src 0
		.amdhsa_exception_fp_ieee_div_zero 0
		.amdhsa_exception_fp_ieee_overflow 0
		.amdhsa_exception_fp_ieee_underflow 0
		.amdhsa_exception_fp_ieee_inexact 0
		.amdhsa_exception_int_div_zero 0
	.end_amdhsa_kernel
	.section	.text._ZL13mm_ids_helperILi6EEvPKiPiS2_S2_iiiii,"axG",@progbits,_ZL13mm_ids_helperILi6EEvPKiPiS2_S2_iiiii,comdat
.Lfunc_end2:
	.size	_ZL13mm_ids_helperILi6EEvPKiPiS2_S2_iiiii, .Lfunc_end2-_ZL13mm_ids_helperILi6EEvPKiPiS2_S2_iiiii
                                        ; -- End function
	.set _ZL13mm_ids_helperILi6EEvPKiPiS2_S2_iiiii.num_vgpr, 25
	.set _ZL13mm_ids_helperILi6EEvPKiPiS2_S2_iiiii.num_agpr, 0
	.set _ZL13mm_ids_helperILi6EEvPKiPiS2_S2_iiiii.numbered_sgpr, 18
	.set _ZL13mm_ids_helperILi6EEvPKiPiS2_S2_iiiii.num_named_barrier, 0
	.set _ZL13mm_ids_helperILi6EEvPKiPiS2_S2_iiiii.private_seg_size, 0
	.set _ZL13mm_ids_helperILi6EEvPKiPiS2_S2_iiiii.uses_vcc, 1
	.set _ZL13mm_ids_helperILi6EEvPKiPiS2_S2_iiiii.uses_flat_scratch, 0
	.set _ZL13mm_ids_helperILi6EEvPKiPiS2_S2_iiiii.has_dyn_sized_stack, 0
	.set _ZL13mm_ids_helperILi6EEvPKiPiS2_S2_iiiii.has_recursion, 0
	.set _ZL13mm_ids_helperILi6EEvPKiPiS2_S2_iiiii.has_indirect_call, 0
	.section	.AMDGPU.csdata,"",@progbits
; Kernel info:
; codeLenInByte = 1456
; TotalNumSgprs: 20
; NumVgprs: 25
; ScratchSize: 0
; MemoryBound: 0
; FloatMode: 240
; IeeeMode: 1
; LDSByteSize: 0 bytes/workgroup (compile time only)
; SGPRBlocks: 0
; VGPRBlocks: 3
; NumSGPRsForWavesPerEU: 20
; NumVGPRsForWavesPerEU: 25
; Occupancy: 16
; WaveLimiterHint : 0
; COMPUTE_PGM_RSRC2:SCRATCH_EN: 0
; COMPUTE_PGM_RSRC2:USER_SGPR: 2
; COMPUTE_PGM_RSRC2:TRAP_HANDLER: 0
; COMPUTE_PGM_RSRC2:TGID_X_EN: 1
; COMPUTE_PGM_RSRC2:TGID_Y_EN: 0
; COMPUTE_PGM_RSRC2:TGID_Z_EN: 0
; COMPUTE_PGM_RSRC2:TIDIG_COMP_CNT: 0
	.section	.text._ZL13mm_ids_helperILi8EEvPKiPiS2_S2_iiiii,"axG",@progbits,_ZL13mm_ids_helperILi8EEvPKiPiS2_S2_iiiii,comdat
	.globl	_ZL13mm_ids_helperILi8EEvPKiPiS2_S2_iiiii ; -- Begin function _ZL13mm_ids_helperILi8EEvPKiPiS2_S2_iiiii
	.p2align	8
	.type	_ZL13mm_ids_helperILi8EEvPKiPiS2_S2_iiiii,@function
_ZL13mm_ids_helperILi8EEvPKiPiS2_S2_iiiii: ; @_ZL13mm_ids_helperILi8EEvPKiPiS2_S2_iiiii
; %bb.0:
	s_load_b32 s15, s[0:1], 0x20
	v_mbcnt_lo_u32_b32 v7, -1, 0
	s_mov_b32 s2, 0
	s_wait_kmcnt 0x0
	s_cmp_gt_i32 s15, 0
	s_cbranch_scc1 .LBB3_2
; %bb.1:
	v_mbcnt_lo_u32_b32 v1, -1, 0
	v_mov_b32_e32 v8, 0
	s_delay_alu instid0(VALU_DEP_2)
	v_xor_b32_e32 v4, 4, v1
	v_xor_b32_e32 v5, 2, v1
	;; [unrolled: 1-line block ×3, first 2 shown]
	s_branch .LBB3_3
.LBB3_2:
	s_mov_b32 s2, -1
                                        ; implicit-def: $vgpr1
                                        ; implicit-def: $vgpr8
                                        ; implicit-def: $vgpr4
                                        ; implicit-def: $vgpr5
                                        ; implicit-def: $vgpr6
.LBB3_3:
	s_clause 0x1
	s_load_b128 s[8:11], s[0:1], 0x8
	s_load_b96 s[12:14], s[0:1], 0x28
	v_mov_b32_e32 v9, 0
	v_mov_b32_e32 v3, 0
	s_and_not1_b32 vcc_lo, exec_lo, s2
	s_cbranch_vccnz .LBB3_11
; %bb.4:
	v_xor_b32_e32 v4, 4, v7
	v_and_b32_e32 v1, 24, v7
	v_xor_b32_e32 v5, 2, v7
	v_xor_b32_e32 v6, 1, v7
	s_load_b64 s[6:7], s[0:1], 0x0
	s_delay_alu instid0(VALU_DEP_3)
	v_dual_mov_b32 v8, 0 :: v_dual_add_nc_u32 v1, 8, v1
	v_lshrrev_b32_e32 v10, 3, v0
	v_cmp_gt_u32_e64 s2, 8, v0
	v_cmp_gt_u32_e64 s3, 16, v0
	v_cmp_gt_u32_e64 s4, 24, v0
	v_cmp_lt_i32_e32 vcc_lo, v4, v1
	v_mov_b32_e32 v19, 0
	v_dual_mov_b32 v15, 0x7c :: v_dual_cndmask_b32 v2, v7, v4
	v_cmp_lt_i32_e32 vcc_lo, v5, v1
	s_delay_alu instid0(VALU_DEP_2) | instskip(SKIP_3) | instid1(VALU_DEP_2)
	v_lshlrev_b32_e32 v11, 2, v2
	s_wait_alu 0xfffd
	v_dual_cndmask_b32 v3, v7, v5 :: v_dual_add_nc_u32 v2, -8, v7
	v_cmp_lt_i32_e32 vcc_lo, v6, v1
	v_lshlrev_b32_e32 v12, 2, v3
	v_add_nc_u32_e32 v3, -16, v7
	s_wait_alu 0xfffd
	v_cndmask_b32_e32 v9, v7, v6, vcc_lo
	v_cmp_gt_i32_e32 vcc_lo, 0, v2
	v_and_b32_e32 v1, 7, v0
	s_delay_alu instid0(VALU_DEP_3)
	v_lshlrev_b32_e32 v13, 2, v9
	v_subrev_nc_u32_e32 v9, 24, v7
	s_wait_alu 0xfffd
	v_cndmask_b32_e32 v2, v2, v7, vcc_lo
	v_cmp_gt_i32_e32 vcc_lo, 0, v3
	v_lshlrev_b32_e32 v14, 22, v1
	s_wait_alu 0xfffd
	s_delay_alu instid0(VALU_DEP_3)
	v_dual_cndmask_b32 v3, v3, v7 :: v_dual_lshlrev_b32 v16, 2, v2
	v_cmp_gt_i32_e32 vcc_lo, 0, v9
	s_wait_kmcnt 0x0
	v_mad_co_u64_u32 v[1:2], null, s13, v10, v[1:2]
	s_lshl_b32 s13, s13, 2
	v_lshlrev_b32_e32 v17, 2, v3
	s_wait_alu 0xfffd
	v_cndmask_b32_e32 v9, v9, v7, vcc_lo
	s_delay_alu instid0(VALU_DEP_1)
	v_dual_mov_b32 v3, 0 :: v_dual_lshlrev_b32 v18, 2, v9
	v_mov_b32_e32 v9, 0
	s_branch .LBB3_6
.LBB3_5:                                ;   in Loop: Header=BB3_6 Depth=1
	s_wait_alu 0xfffe
	s_or_b32 exec_lo, exec_lo, s5
	v_add_nc_u32_e32 v20, v22, v21
	v_add_nc_u32_e32 v19, 4, v19
	v_cmp_gt_i32_e64 s5, ttmp9, v2
	v_add_nc_u32_e32 v1, s13, v1
	ds_bpermute_b32 v20, v15, v20
	v_cmp_le_i32_e32 vcc_lo, s15, v19
	s_wait_alu 0xf1ff
	v_add_co_ci_u32_e64 v9, null, 0, v9, s5
	s_wait_dscnt 0x0
	v_add_nc_u32_e32 v3, v20, v3
	s_cbranch_vccnz .LBB3_10
.LBB3_6:                                ; =>This Inner Loop Header: Depth=1
	v_add_nc_u32_e32 v20, v10, v19
	v_bfrev_b32_e32 v2, -2
	s_mov_b32 s5, exec_lo
	s_delay_alu instid0(VALU_DEP_2)
	v_cmpx_gt_i32_e64 s15, v20
	s_cbranch_execz .LBB3_8
; %bb.7:                                ;   in Loop: Header=BB3_6 Depth=1
	v_ashrrev_i32_e32 v2, 31, v1
	s_delay_alu instid0(VALU_DEP_1) | instskip(NEXT) | instid1(VALU_DEP_1)
	v_lshlrev_b64_e32 v[21:22], 2, v[1:2]
	v_add_co_u32 v21, vcc_lo, s6, v21
	s_wait_alu 0xfffd
	s_delay_alu instid0(VALU_DEP_2)
	v_add_co_ci_u32_e64 v22, null, s7, v22, vcc_lo
	global_load_b32 v2, v[21:22], off
.LBB3_8:                                ;   in Loop: Header=BB3_6 Depth=1
	s_wait_alu 0xfffe
	s_or_b32 exec_lo, exec_lo, s5
	s_wait_loadcnt 0x0
	v_cmp_eq_u32_e32 vcc_lo, ttmp9, v2
	s_wait_alu 0xfffd
	v_cndmask_b32_e64 v21, 0, 1, vcc_lo
	ds_bpermute_b32 v22, v11, v21
	s_wait_dscnt 0x0
	v_or_b32_e32 v21, v22, v21
	s_delay_alu instid0(VALU_DEP_1) | instskip(SKIP_1) | instid1(VALU_DEP_1)
	v_cmp_ne_u32_e64 s5, 0, v21
	s_wait_alu 0xf1ff
	v_cndmask_b32_e64 v22, 0, 1, s5
	ds_bpermute_b32 v22, v12, v22
	s_wait_dscnt 0x0
	v_or_b32_e32 v21, v22, v21
	s_delay_alu instid0(VALU_DEP_1) | instskip(SKIP_1) | instid1(VALU_DEP_1)
	v_cmp_ne_u32_e64 s5, 0, v21
	s_wait_alu 0xf1ff
	v_cndmask_b32_e64 v22, 0, 1, s5
	;; [unrolled: 7-line block ×3, first 2 shown]
	ds_bpermute_b32 v22, v16, v21
	ds_bpermute_b32 v23, v17, v21
	;; [unrolled: 1-line block ×3, first 2 shown]
	s_wait_dscnt 0x2
	v_cndmask_b32_e64 v22, v22, 0, s2
	s_wait_dscnt 0x1
	v_cndmask_b32_e64 v23, v23, 0, s3
	;; [unrolled: 2-line block ×3, first 2 shown]
	s_delay_alu instid0(VALU_DEP_1)
	v_add3_u32 v22, v23, v22, v24
	s_and_saveexec_b32 s5, vcc_lo
	s_cbranch_execz .LBB3_5
; %bb.9:                                ;   in Loop: Header=BB3_6 Depth=1
	v_lshlrev_b32_e32 v23, 2, v3
	s_delay_alu instid0(VALU_DEP_2) | instskip(SKIP_1) | instid1(VALU_DEP_2)
	v_lshlrev_b32_e32 v24, 2, v22
	v_and_or_b32 v20, 0x3fffff, v20, v14
	v_add3_u32 v23, 0, v23, v24
	ds_store_b32 v23, v20
	s_branch .LBB3_5
.LBB3_10:
	v_mov_b32_e32 v1, v7
.LBB3_11:
	s_delay_alu instid0(VALU_DEP_1) | instskip(SKIP_4) | instid1(VALU_DEP_2)
	v_xor_b32_e32 v2, 16, v1
	v_add_nc_u32_e32 v11, 32, v8
	v_xor_b32_e32 v7, 8, v1
	s_load_b64 s[4:5], s[0:1], 0x18
	s_mov_b32 s3, exec_lo
	v_cmp_lt_i32_e32 vcc_lo, v2, v11
	s_wait_alu 0xfffd
	v_cndmask_b32_e32 v2, v1, v2, vcc_lo
	v_cmp_lt_i32_e32 vcc_lo, v7, v11
	s_wait_alu 0xfffd
	s_delay_alu instid0(VALU_DEP_2)
	v_dual_cndmask_b32 v7, v1, v7 :: v_dual_lshlrev_b32 v2, 2, v2
	v_cmp_lt_i32_e32 vcc_lo, v4, v11
	ds_bpermute_b32 v2, v2, v9
	s_wait_alu 0xfffd
	v_dual_cndmask_b32 v4, v1, v4 :: v_dual_lshlrev_b32 v7, 2, v7
	v_cmp_lt_i32_e32 vcc_lo, v5, v11
	s_delay_alu instid0(VALU_DEP_2)
	v_lshlrev_b32_e32 v4, 2, v4
	s_wait_dscnt 0x0
	v_add_nc_u32_e32 v8, v2, v9
	ds_bpermute_b32 v7, v7, v8
	s_wait_dscnt 0x0
	v_add_nc_u32_e32 v10, v7, v8
	ds_bpermute_b32 v8, v4, v10
	s_wait_alu 0xfffd
	v_cndmask_b32_e32 v4, v1, v5, vcc_lo
	v_cmp_lt_i32_e32 vcc_lo, v6, v11
	s_wait_alu 0xfffd
	v_cndmask_b32_e32 v1, v1, v6, vcc_lo
	s_delay_alu instid0(VALU_DEP_1)
	v_lshlrev_b32_e32 v1, 2, v1
	s_wait_dscnt 0x0
	v_add_nc_u32_e32 v5, v8, v10
	v_lshlrev_b32_e32 v4, 2, v4
	ds_bpermute_b32 v10, v4, v5
	s_wait_dscnt 0x0
	v_add_nc_u32_e32 v4, v10, v5
	ds_bpermute_b32 v5, v1, v4
	v_cmpx_lt_i32_e64 v0, v3
	s_cbranch_execz .LBB3_14
; %bb.12:
	s_wait_kmcnt 0x0
	s_abs_i32 s6, s12
	v_lshl_add_u32 v6, v0, 2, 0
	s_wait_alu 0xfffe
	s_cvt_f32_u32 s2, s6
	s_sub_co_i32 s7, 0, s6
	s_wait_alu 0xfffe
	s_delay_alu instid0(SALU_CYCLE_1) | instskip(NEXT) | instid1(TRANS32_DEP_1)
	v_rcp_iflag_f32_e32 v1, s2
	v_readfirstlane_b32 s2, v1
	v_add3_u32 v1, v2, v7, v8
	v_mov_b32_e32 v7, v0
	s_mul_f32 s2, s2, 0x4f7ffffe
	s_wait_dscnt 0x0
	s_delay_alu instid0(VALU_DEP_2) | instskip(SKIP_2) | instid1(VALU_DEP_1)
	v_add3_u32 v1, v1, v10, v5
	s_wait_alu 0xfffe
	s_cvt_u32_f32 s2, s2
	v_add3_u32 v1, v1, v0, v9
	s_wait_alu 0xfffe
	s_delay_alu instid0(SALU_CYCLE_1)
	s_mul_i32 s7, s7, s2
	s_wait_alu 0xfffe
	s_mul_hi_u32 s12, s2, s7
	s_mov_b32 s7, 0
	s_wait_alu 0xfffe
	s_add_co_i32 s12, s2, s12
.LBB3_13:                               ; =>This Inner Loop Header: Depth=1
	ds_load_b32 v12, v6
	v_add_nc_u32_e32 v7, 32, v7
	v_add_nc_u32_e32 v6, 0x80, v6
	s_wait_dscnt 0x0
	v_lshrrev_b32_e32 v14, 22, v12
	v_and_b32_e32 v15, 0x3fffff, v12
	s_wait_alu 0xfffe
	s_delay_alu instid0(VALU_DEP_2) | instskip(NEXT) | instid1(VALU_DEP_1)
	v_mul_hi_u32 v2, v14, s12
	v_mul_lo_u32 v2, v2, s6
	s_delay_alu instid0(VALU_DEP_1) | instskip(SKIP_1) | instid1(VALU_DEP_2)
	v_sub_nc_u32_e32 v10, v14, v2
	v_ashrrev_i32_e32 v2, 31, v1
	v_subrev_nc_u32_e32 v11, s6, v10
	v_cmp_le_u32_e32 vcc_lo, s6, v10
	s_delay_alu instid0(VALU_DEP_3) | instskip(SKIP_1) | instid1(VALU_DEP_3)
	v_lshlrev_b64_e32 v[8:9], 2, v[1:2]
	s_wait_alu 0xfffd
	v_dual_cndmask_b32 v2, v10, v11 :: v_dual_add_nc_u32 v1, 32, v1
	v_cmp_ge_i32_e32 vcc_lo, v7, v3
	s_delay_alu instid0(VALU_DEP_3)
	v_add_co_u32 v10, s2, s8, v8
	s_wait_alu 0xf1ff
	v_add_co_ci_u32_e64 v11, null, s9, v9, s2
	v_subrev_nc_u32_e32 v13, s6, v2
	v_cmp_le_u32_e64 s2, s6, v2
	s_or_b32 s7, vcc_lo, s7
	v_cndmask_b32_e64 v2, v2, v13, s2
	v_add_co_u32 v8, s2, s10, v8
	s_wait_alu 0xf1ff
	v_add_co_ci_u32_e64 v9, null, s11, v9, s2
	s_delay_alu instid0(VALU_DEP_3)
	v_mad_co_u64_u32 v[12:13], null, v15, s14, v[2:3]
	v_lshl_add_u32 v2, v15, 3, v14
	global_store_b32 v[8:9], v2, off
	global_store_b32 v[10:11], v12, off
	s_wait_alu 0xfffe
	s_and_not1_b32 exec_lo, exec_lo, s7
	s_cbranch_execnz .LBB3_13
.LBB3_14:
	s_wait_alu 0xfffe
	s_or_b32 exec_lo, exec_lo, s3
	s_delay_alu instid0(SALU_CYCLE_1)
	s_mov_b32 s2, exec_lo
	v_cmpx_eq_u32_e32 0, v0
	s_cbranch_execz .LBB3_17
; %bb.15:
	s_load_b32 s0, s[0:1], 0x38
	s_mov_b32 s2, ttmp9
	s_ashr_i32 s3, ttmp9, 31
	s_wait_dscnt 0x0
	v_dual_mov_b32 v0, 0 :: v_dual_add_nc_u32 v1, v5, v4
	s_wait_alu 0xfffe
	s_lshl_b64 s[2:3], s[2:3], 2
	s_wait_kmcnt 0x0
	s_wait_alu 0xfffe
	s_add_nc_u64 s[2:3], s[4:5], s[2:3]
	global_store_b32 v0, v1, s[2:3]
	s_add_co_i32 s1, s0, -1
	s_wait_alu 0xfffe
	s_cmp_lt_i32 ttmp9, s1
	s_cbranch_scc1 .LBB3_17
; %bb.16:
	s_mov_b32 s1, 0
	v_add_nc_u32_e32 v1, v1, v3
	s_wait_alu 0xfffe
	s_lshl_b64 s[0:1], s[0:1], 2
	s_wait_alu 0xfffe
	s_add_nc_u64 s[0:1], s[4:5], s[0:1]
	global_store_b32 v0, v1, s[0:1]
.LBB3_17:
	s_endpgm
	.section	.rodata,"a",@progbits
	.p2align	6, 0x0
	.amdhsa_kernel _ZL13mm_ids_helperILi8EEvPKiPiS2_S2_iiiii
		.amdhsa_group_segment_fixed_size 0
		.amdhsa_private_segment_fixed_size 0
		.amdhsa_kernarg_size 312
		.amdhsa_user_sgpr_count 2
		.amdhsa_user_sgpr_dispatch_ptr 0
		.amdhsa_user_sgpr_queue_ptr 0
		.amdhsa_user_sgpr_kernarg_segment_ptr 1
		.amdhsa_user_sgpr_dispatch_id 0
		.amdhsa_user_sgpr_private_segment_size 0
		.amdhsa_wavefront_size32 1
		.amdhsa_uses_dynamic_stack 0
		.amdhsa_enable_private_segment 0
		.amdhsa_system_sgpr_workgroup_id_x 1
		.amdhsa_system_sgpr_workgroup_id_y 0
		.amdhsa_system_sgpr_workgroup_id_z 0
		.amdhsa_system_sgpr_workgroup_info 0
		.amdhsa_system_vgpr_workitem_id 0
		.amdhsa_next_free_vgpr 25
		.amdhsa_next_free_sgpr 16
		.amdhsa_reserve_vcc 1
		.amdhsa_float_round_mode_32 0
		.amdhsa_float_round_mode_16_64 0
		.amdhsa_float_denorm_mode_32 3
		.amdhsa_float_denorm_mode_16_64 3
		.amdhsa_fp16_overflow 0
		.amdhsa_workgroup_processor_mode 1
		.amdhsa_memory_ordered 1
		.amdhsa_forward_progress 1
		.amdhsa_inst_pref_size 12
		.amdhsa_round_robin_scheduling 0
		.amdhsa_exception_fp_ieee_invalid_op 0
		.amdhsa_exception_fp_denorm_src 0
		.amdhsa_exception_fp_ieee_div_zero 0
		.amdhsa_exception_fp_ieee_overflow 0
		.amdhsa_exception_fp_ieee_underflow 0
		.amdhsa_exception_fp_ieee_inexact 0
		.amdhsa_exception_int_div_zero 0
	.end_amdhsa_kernel
	.section	.text._ZL13mm_ids_helperILi8EEvPKiPiS2_S2_iiiii,"axG",@progbits,_ZL13mm_ids_helperILi8EEvPKiPiS2_S2_iiiii,comdat
.Lfunc_end3:
	.size	_ZL13mm_ids_helperILi8EEvPKiPiS2_S2_iiiii, .Lfunc_end3-_ZL13mm_ids_helperILi8EEvPKiPiS2_S2_iiiii
                                        ; -- End function
	.set _ZL13mm_ids_helperILi8EEvPKiPiS2_S2_iiiii.num_vgpr, 25
	.set _ZL13mm_ids_helperILi8EEvPKiPiS2_S2_iiiii.num_agpr, 0
	.set _ZL13mm_ids_helperILi8EEvPKiPiS2_S2_iiiii.numbered_sgpr, 16
	.set _ZL13mm_ids_helperILi8EEvPKiPiS2_S2_iiiii.num_named_barrier, 0
	.set _ZL13mm_ids_helperILi8EEvPKiPiS2_S2_iiiii.private_seg_size, 0
	.set _ZL13mm_ids_helperILi8EEvPKiPiS2_S2_iiiii.uses_vcc, 1
	.set _ZL13mm_ids_helperILi8EEvPKiPiS2_S2_iiiii.uses_flat_scratch, 0
	.set _ZL13mm_ids_helperILi8EEvPKiPiS2_S2_iiiii.has_dyn_sized_stack, 0
	.set _ZL13mm_ids_helperILi8EEvPKiPiS2_S2_iiiii.has_recursion, 0
	.set _ZL13mm_ids_helperILi8EEvPKiPiS2_S2_iiiii.has_indirect_call, 0
	.section	.AMDGPU.csdata,"",@progbits
; Kernel info:
; codeLenInByte = 1452
; TotalNumSgprs: 18
; NumVgprs: 25
; ScratchSize: 0
; MemoryBound: 0
; FloatMode: 240
; IeeeMode: 1
; LDSByteSize: 0 bytes/workgroup (compile time only)
; SGPRBlocks: 0
; VGPRBlocks: 3
; NumSGPRsForWavesPerEU: 18
; NumVGPRsForWavesPerEU: 25
; Occupancy: 16
; WaveLimiterHint : 0
; COMPUTE_PGM_RSRC2:SCRATCH_EN: 0
; COMPUTE_PGM_RSRC2:USER_SGPR: 2
; COMPUTE_PGM_RSRC2:TRAP_HANDLER: 0
; COMPUTE_PGM_RSRC2:TGID_X_EN: 1
; COMPUTE_PGM_RSRC2:TGID_Y_EN: 0
; COMPUTE_PGM_RSRC2:TGID_Z_EN: 0
; COMPUTE_PGM_RSRC2:TIDIG_COMP_CNT: 0
	.section	.text._ZL13mm_ids_helperILi16EEvPKiPiS2_S2_iiiii,"axG",@progbits,_ZL13mm_ids_helperILi16EEvPKiPiS2_S2_iiiii,comdat
	.globl	_ZL13mm_ids_helperILi16EEvPKiPiS2_S2_iiiii ; -- Begin function _ZL13mm_ids_helperILi16EEvPKiPiS2_S2_iiiii
	.p2align	8
	.type	_ZL13mm_ids_helperILi16EEvPKiPiS2_S2_iiiii,@function
_ZL13mm_ids_helperILi16EEvPKiPiS2_S2_iiiii: ; @_ZL13mm_ids_helperILi16EEvPKiPiS2_S2_iiiii
; %bb.0:
	s_load_b32 s11, s[0:1], 0x20
	v_mbcnt_lo_u32_b32 v8, -1, 0
	s_mov_b32 s2, 0
	s_wait_kmcnt 0x0
	s_cmp_gt_i32 s11, 0
	s_cbranch_scc1 .LBB4_2
; %bb.1:
	v_mbcnt_lo_u32_b32 v1, -1, 0
	v_mov_b32_e32 v9, 0
	s_delay_alu instid0(VALU_DEP_2)
	v_xor_b32_e32 v4, 8, v1
	v_xor_b32_e32 v5, 4, v1
	;; [unrolled: 1-line block ×4, first 2 shown]
	s_branch .LBB4_3
.LBB4_2:
	s_mov_b32 s2, -1
                                        ; implicit-def: $vgpr1
                                        ; implicit-def: $vgpr9
                                        ; implicit-def: $vgpr4
                                        ; implicit-def: $vgpr5
                                        ; implicit-def: $vgpr6
                                        ; implicit-def: $vgpr7
.LBB4_3:
	s_clause 0x1
	s_load_b128 s[4:7], s[0:1], 0x8
	s_load_b96 s[8:10], s[0:1], 0x28
	v_dual_mov_b32 v10, 0 :: v_dual_mov_b32 v3, 0
	s_and_not1_b32 vcc_lo, exec_lo, s2
	s_cbranch_vccnz .LBB4_11
; %bb.4:
	v_xor_b32_e32 v5, 4, v8
	v_and_b32_e32 v1, 16, v8
	v_xor_b32_e32 v4, 8, v8
	v_xor_b32_e32 v6, 2, v8
	;; [unrolled: 1-line block ×3, first 2 shown]
	s_delay_alu instid0(VALU_DEP_4)
	v_dual_mov_b32 v9, 0 :: v_dual_add_nc_u32 v2, 16, v1
	s_load_b64 s[12:13], s[0:1], 0x0
	v_add_nc_u32_e32 v15, -16, v8
	v_lshrrev_b32_e32 v11, 4, v0
	v_cmp_gt_u32_e64 s2, 16, v0
	v_cmp_lt_i32_e32 vcc_lo, v4, v2
	v_mov_b32_e32 v19, 0
	v_cndmask_b32_e32 v3, v8, v4, vcc_lo
	v_cmp_lt_i32_e32 vcc_lo, v5, v2
	s_wait_alu 0xfffd
	v_cndmask_b32_e32 v10, v8, v5, vcc_lo
	v_cmp_lt_i32_e32 vcc_lo, v6, v2
	v_lshlrev_b32_e32 v12, 2, v3
	s_delay_alu instid0(VALU_DEP_3)
	v_lshlrev_b32_e32 v13, 2, v10
	s_wait_alu 0xfffd
	v_cndmask_b32_e32 v3, v8, v6, vcc_lo
	v_cmp_lt_i32_e32 vcc_lo, v7, v2
	v_dual_mov_b32 v10, 0 :: v_dual_and_b32 v1, 15, v0
	s_wait_alu 0xfffd
	v_cndmask_b32_e32 v2, v8, v7, vcc_lo
	v_cmp_gt_i32_e32 vcc_lo, 0, v15
	v_lshlrev_b32_e32 v14, 2, v3
	s_wait_alu 0xfffd
	v_dual_cndmask_b32 v3, v15, v8 :: v_dual_lshlrev_b32 v16, 22, v1
	v_lshlrev_b32_e32 v15, 2, v2
	s_wait_kmcnt 0x0
	v_mad_co_u64_u32 v[1:2], null, s9, v11, v[1:2]
	s_delay_alu instid0(VALU_DEP_3)
	v_dual_mov_b32 v17, 0x7c :: v_dual_lshlrev_b32 v18, 2, v3
	v_mov_b32_e32 v3, 0
	s_lshl_b32 s9, s9, 1
	s_branch .LBB4_6
.LBB4_5:                                ;   in Loop: Header=BB4_6 Depth=1
	s_wait_alu 0xfffe
	s_or_b32 exec_lo, exec_lo, s3
	v_add_nc_u32_e32 v20, v22, v21
	v_add_nc_u32_e32 v19, 2, v19
	v_cmp_gt_i32_e64 s3, ttmp9, v2
	v_add_nc_u32_e32 v1, s9, v1
	ds_bpermute_b32 v20, v17, v20
	v_cmp_le_i32_e32 vcc_lo, s11, v19
	s_wait_alu 0xf1ff
	v_add_co_ci_u32_e64 v10, null, 0, v10, s3
	s_wait_dscnt 0x0
	v_add_nc_u32_e32 v3, v20, v3
	s_cbranch_vccnz .LBB4_10
.LBB4_6:                                ; =>This Inner Loop Header: Depth=1
	v_add_nc_u32_e32 v20, v11, v19
	v_bfrev_b32_e32 v2, -2
	s_mov_b32 s3, exec_lo
	s_delay_alu instid0(VALU_DEP_2)
	v_cmpx_gt_i32_e64 s11, v20
	s_cbranch_execz .LBB4_8
; %bb.7:                                ;   in Loop: Header=BB4_6 Depth=1
	v_ashrrev_i32_e32 v2, 31, v1
	s_delay_alu instid0(VALU_DEP_1) | instskip(NEXT) | instid1(VALU_DEP_1)
	v_lshlrev_b64_e32 v[21:22], 2, v[1:2]
	v_add_co_u32 v21, vcc_lo, s12, v21
	s_wait_alu 0xfffd
	s_delay_alu instid0(VALU_DEP_2)
	v_add_co_ci_u32_e64 v22, null, s13, v22, vcc_lo
	global_load_b32 v2, v[21:22], off
.LBB4_8:                                ;   in Loop: Header=BB4_6 Depth=1
	s_wait_alu 0xfffe
	s_or_b32 exec_lo, exec_lo, s3
	s_wait_loadcnt 0x0
	v_cmp_eq_u32_e32 vcc_lo, ttmp9, v2
	s_wait_alu 0xfffd
	v_cndmask_b32_e64 v21, 0, 1, vcc_lo
	ds_bpermute_b32 v22, v12, v21
	s_wait_dscnt 0x0
	v_or_b32_e32 v21, v22, v21
	s_delay_alu instid0(VALU_DEP_1) | instskip(SKIP_1) | instid1(VALU_DEP_1)
	v_cmp_ne_u32_e64 s3, 0, v21
	s_wait_alu 0xf1ff
	v_cndmask_b32_e64 v22, 0, 1, s3
	ds_bpermute_b32 v22, v13, v22
	s_wait_dscnt 0x0
	v_or_b32_e32 v21, v22, v21
	s_delay_alu instid0(VALU_DEP_1) | instskip(SKIP_1) | instid1(VALU_DEP_1)
	v_cmp_ne_u32_e64 s3, 0, v21
	s_wait_alu 0xf1ff
	v_cndmask_b32_e64 v22, 0, 1, s3
	;; [unrolled: 7-line block ×4, first 2 shown]
	ds_bpermute_b32 v22, v18, v21
	s_wait_dscnt 0x0
	v_cndmask_b32_e64 v22, v22, 0, s2
	s_and_saveexec_b32 s3, vcc_lo
	s_cbranch_execz .LBB4_5
; %bb.9:                                ;   in Loop: Header=BB4_6 Depth=1
	v_lshlrev_b32_e32 v23, 2, v3
	s_delay_alu instid0(VALU_DEP_2) | instskip(SKIP_1) | instid1(VALU_DEP_2)
	v_lshlrev_b32_e32 v24, 2, v22
	v_and_or_b32 v20, 0x3fffff, v20, v16
	v_add3_u32 v23, 0, v23, v24
	ds_store_b32 v23, v20
	s_branch .LBB4_5
.LBB4_10:
	v_mov_b32_e32 v1, v8
.LBB4_11:
	s_delay_alu instid0(VALU_DEP_1) | instskip(SKIP_3) | instid1(VALU_DEP_1)
	v_xor_b32_e32 v2, 16, v1
	v_add_nc_u32_e32 v11, 32, v9
	s_load_b64 s[12:13], s[0:1], 0x18
	s_mov_b32 s3, exec_lo
	v_cmp_lt_i32_e32 vcc_lo, v2, v11
	s_wait_alu 0xfffd
	v_cndmask_b32_e32 v2, v1, v2, vcc_lo
	v_cmp_lt_i32_e32 vcc_lo, v4, v11
	s_delay_alu instid0(VALU_DEP_2)
	v_lshlrev_b32_e32 v2, 2, v2
	ds_bpermute_b32 v2, v2, v10
	s_wait_alu 0xfffd
	v_cndmask_b32_e32 v4, v1, v4, vcc_lo
	v_cmp_lt_i32_e32 vcc_lo, v5, v11
	s_wait_dscnt 0x0
	v_add_nc_u32_e32 v9, v2, v10
	s_delay_alu instid0(VALU_DEP_3) | instskip(SKIP_4) | instid1(VALU_DEP_2)
	v_lshlrev_b32_e32 v4, 2, v4
	ds_bpermute_b32 v8, v4, v9
	s_wait_alu 0xfffd
	v_cndmask_b32_e32 v4, v1, v5, vcc_lo
	v_cmp_lt_i32_e32 vcc_lo, v6, v11
	v_lshlrev_b32_e32 v4, 2, v4
	s_wait_dscnt 0x0
	v_add_nc_u32_e32 v5, v8, v9
	ds_bpermute_b32 v9, v4, v5
	s_wait_alu 0xfffd
	v_cndmask_b32_e32 v4, v1, v6, vcc_lo
	v_cmp_lt_i32_e32 vcc_lo, v7, v11
	s_wait_alu 0xfffd
	s_delay_alu instid0(VALU_DEP_2) | instskip(NEXT) | instid1(VALU_DEP_1)
	v_dual_cndmask_b32 v1, v1, v7 :: v_dual_lshlrev_b32 v4, 2, v4
	v_lshlrev_b32_e32 v1, 2, v1
	s_wait_dscnt 0x0
	v_add_nc_u32_e32 v5, v9, v5
	ds_bpermute_b32 v6, v4, v5
	s_wait_dscnt 0x0
	v_add_nc_u32_e32 v4, v6, v5
	ds_bpermute_b32 v5, v1, v4
	v_cmpx_lt_i32_e64 v0, v3
	s_cbranch_execz .LBB4_14
; %bb.12:
	s_wait_kmcnt 0x0
	s_abs_i32 s8, s8
	v_mov_b32_e32 v7, v0
	s_wait_alu 0xfffe
	s_cvt_f32_u32 s2, s8
	s_sub_co_i32 s9, 0, s8
	s_wait_alu 0xfffe
	s_delay_alu instid0(SALU_CYCLE_1) | instskip(NEXT) | instid1(TRANS32_DEP_1)
	v_rcp_iflag_f32_e32 v1, s2
	v_readfirstlane_b32 s2, v1
	v_add3_u32 v1, v2, v8, v9
	s_mul_f32 s2, s2, 0x4f7ffffe
	s_wait_dscnt 0x0
	s_delay_alu instid0(VALU_DEP_1) | instskip(SKIP_3) | instid1(VALU_DEP_2)
	v_add3_u32 v1, v1, v6, v5
	v_lshl_add_u32 v6, v0, 2, 0
	s_wait_alu 0xfffe
	s_cvt_u32_f32 s2, s2
	v_add3_u32 v1, v1, v0, v10
	s_wait_alu 0xfffe
	s_delay_alu instid0(SALU_CYCLE_1)
	s_mul_i32 s9, s9, s2
	s_wait_alu 0xfffe
	s_mul_hi_u32 s11, s2, s9
	s_mov_b32 s9, 0
	s_wait_alu 0xfffe
	s_add_co_i32 s11, s2, s11
.LBB4_13:                               ; =>This Inner Loop Header: Depth=1
	ds_load_b32 v12, v6
	v_add_nc_u32_e32 v7, 32, v7
	v_add_nc_u32_e32 v6, 0x80, v6
	s_wait_dscnt 0x0
	v_lshrrev_b32_e32 v14, 22, v12
	v_and_b32_e32 v15, 0x3fffff, v12
	s_wait_alu 0xfffe
	s_delay_alu instid0(VALU_DEP_2) | instskip(NEXT) | instid1(VALU_DEP_1)
	v_mul_hi_u32 v2, v14, s11
	v_mul_lo_u32 v2, v2, s8
	s_delay_alu instid0(VALU_DEP_1) | instskip(SKIP_1) | instid1(VALU_DEP_2)
	v_sub_nc_u32_e32 v10, v14, v2
	v_ashrrev_i32_e32 v2, 31, v1
	v_subrev_nc_u32_e32 v11, s8, v10
	v_cmp_le_u32_e32 vcc_lo, s8, v10
	s_delay_alu instid0(VALU_DEP_3) | instskip(SKIP_1) | instid1(VALU_DEP_3)
	v_lshlrev_b64_e32 v[8:9], 2, v[1:2]
	s_wait_alu 0xfffd
	v_dual_cndmask_b32 v2, v10, v11 :: v_dual_add_nc_u32 v1, 32, v1
	v_cmp_ge_i32_e32 vcc_lo, v7, v3
	s_delay_alu instid0(VALU_DEP_3)
	v_add_co_u32 v10, s2, s4, v8
	s_wait_alu 0xf1ff
	v_add_co_ci_u32_e64 v11, null, s5, v9, s2
	v_subrev_nc_u32_e32 v13, s8, v2
	v_cmp_le_u32_e64 s2, s8, v2
	s_or_b32 s9, vcc_lo, s9
	v_cndmask_b32_e64 v2, v2, v13, s2
	v_add_co_u32 v8, s2, s6, v8
	s_wait_alu 0xf1ff
	v_add_co_ci_u32_e64 v9, null, s7, v9, s2
	s_delay_alu instid0(VALU_DEP_3)
	v_mad_co_u64_u32 v[12:13], null, v15, s10, v[2:3]
	v_lshl_add_u32 v2, v15, 4, v14
	global_store_b32 v[8:9], v2, off
	global_store_b32 v[10:11], v12, off
	s_wait_alu 0xfffe
	s_and_not1_b32 exec_lo, exec_lo, s9
	s_cbranch_execnz .LBB4_13
.LBB4_14:
	s_wait_alu 0xfffe
	s_or_b32 exec_lo, exec_lo, s3
	s_delay_alu instid0(SALU_CYCLE_1)
	s_mov_b32 s2, exec_lo
	v_cmpx_eq_u32_e32 0, v0
	s_cbranch_execz .LBB4_17
; %bb.15:
	s_load_b32 s0, s[0:1], 0x38
	s_mov_b32 s2, ttmp9
	s_ashr_i32 s3, ttmp9, 31
	s_wait_dscnt 0x0
	v_dual_mov_b32 v0, 0 :: v_dual_add_nc_u32 v1, v5, v4
	s_wait_alu 0xfffe
	s_lshl_b64 s[2:3], s[2:3], 2
	s_wait_kmcnt 0x0
	s_wait_alu 0xfffe
	s_add_nc_u64 s[2:3], s[12:13], s[2:3]
	global_store_b32 v0, v1, s[2:3]
	s_add_co_i32 s1, s0, -1
	s_wait_alu 0xfffe
	s_cmp_lt_i32 ttmp9, s1
	s_cbranch_scc1 .LBB4_17
; %bb.16:
	s_mov_b32 s1, 0
	v_add_nc_u32_e32 v1, v1, v3
	s_wait_alu 0xfffe
	s_lshl_b64 s[0:1], s[0:1], 2
	s_wait_alu 0xfffe
	s_add_nc_u64 s[0:1], s[12:13], s[0:1]
	global_store_b32 v0, v1, s[0:1]
.LBB4_17:
	s_endpgm
	.section	.rodata,"a",@progbits
	.p2align	6, 0x0
	.amdhsa_kernel _ZL13mm_ids_helperILi16EEvPKiPiS2_S2_iiiii
		.amdhsa_group_segment_fixed_size 0
		.amdhsa_private_segment_fixed_size 0
		.amdhsa_kernarg_size 312
		.amdhsa_user_sgpr_count 2
		.amdhsa_user_sgpr_dispatch_ptr 0
		.amdhsa_user_sgpr_queue_ptr 0
		.amdhsa_user_sgpr_kernarg_segment_ptr 1
		.amdhsa_user_sgpr_dispatch_id 0
		.amdhsa_user_sgpr_private_segment_size 0
		.amdhsa_wavefront_size32 1
		.amdhsa_uses_dynamic_stack 0
		.amdhsa_enable_private_segment 0
		.amdhsa_system_sgpr_workgroup_id_x 1
		.amdhsa_system_sgpr_workgroup_id_y 0
		.amdhsa_system_sgpr_workgroup_id_z 0
		.amdhsa_system_sgpr_workgroup_info 0
		.amdhsa_system_vgpr_workitem_id 0
		.amdhsa_next_free_vgpr 25
		.amdhsa_next_free_sgpr 14
		.amdhsa_reserve_vcc 1
		.amdhsa_float_round_mode_32 0
		.amdhsa_float_round_mode_16_64 0
		.amdhsa_float_denorm_mode_32 3
		.amdhsa_float_denorm_mode_16_64 3
		.amdhsa_fp16_overflow 0
		.amdhsa_workgroup_processor_mode 1
		.amdhsa_memory_ordered 1
		.amdhsa_forward_progress 1
		.amdhsa_inst_pref_size 11
		.amdhsa_round_robin_scheduling 0
		.amdhsa_exception_fp_ieee_invalid_op 0
		.amdhsa_exception_fp_denorm_src 0
		.amdhsa_exception_fp_ieee_div_zero 0
		.amdhsa_exception_fp_ieee_overflow 0
		.amdhsa_exception_fp_ieee_underflow 0
		.amdhsa_exception_fp_ieee_inexact 0
		.amdhsa_exception_int_div_zero 0
	.end_amdhsa_kernel
	.section	.text._ZL13mm_ids_helperILi16EEvPKiPiS2_S2_iiiii,"axG",@progbits,_ZL13mm_ids_helperILi16EEvPKiPiS2_S2_iiiii,comdat
.Lfunc_end4:
	.size	_ZL13mm_ids_helperILi16EEvPKiPiS2_S2_iiiii, .Lfunc_end4-_ZL13mm_ids_helperILi16EEvPKiPiS2_S2_iiiii
                                        ; -- End function
	.set _ZL13mm_ids_helperILi16EEvPKiPiS2_S2_iiiii.num_vgpr, 25
	.set _ZL13mm_ids_helperILi16EEvPKiPiS2_S2_iiiii.num_agpr, 0
	.set _ZL13mm_ids_helperILi16EEvPKiPiS2_S2_iiiii.numbered_sgpr, 14
	.set _ZL13mm_ids_helperILi16EEvPKiPiS2_S2_iiiii.num_named_barrier, 0
	.set _ZL13mm_ids_helperILi16EEvPKiPiS2_S2_iiiii.private_seg_size, 0
	.set _ZL13mm_ids_helperILi16EEvPKiPiS2_S2_iiiii.uses_vcc, 1
	.set _ZL13mm_ids_helperILi16EEvPKiPiS2_S2_iiiii.uses_flat_scratch, 0
	.set _ZL13mm_ids_helperILi16EEvPKiPiS2_S2_iiiii.has_dyn_sized_stack, 0
	.set _ZL13mm_ids_helperILi16EEvPKiPiS2_S2_iiiii.has_recursion, 0
	.set _ZL13mm_ids_helperILi16EEvPKiPiS2_S2_iiiii.has_indirect_call, 0
	.section	.AMDGPU.csdata,"",@progbits
; Kernel info:
; codeLenInByte = 1396
; TotalNumSgprs: 16
; NumVgprs: 25
; ScratchSize: 0
; MemoryBound: 0
; FloatMode: 240
; IeeeMode: 1
; LDSByteSize: 0 bytes/workgroup (compile time only)
; SGPRBlocks: 0
; VGPRBlocks: 3
; NumSGPRsForWavesPerEU: 16
; NumVGPRsForWavesPerEU: 25
; Occupancy: 16
; WaveLimiterHint : 0
; COMPUTE_PGM_RSRC2:SCRATCH_EN: 0
; COMPUTE_PGM_RSRC2:USER_SGPR: 2
; COMPUTE_PGM_RSRC2:TRAP_HANDLER: 0
; COMPUTE_PGM_RSRC2:TGID_X_EN: 1
; COMPUTE_PGM_RSRC2:TGID_Y_EN: 0
; COMPUTE_PGM_RSRC2:TGID_Z_EN: 0
; COMPUTE_PGM_RSRC2:TIDIG_COMP_CNT: 0
	.section	.text._ZL13mm_ids_helperILi32EEvPKiPiS2_S2_iiiii,"axG",@progbits,_ZL13mm_ids_helperILi32EEvPKiPiS2_S2_iiiii,comdat
	.globl	_ZL13mm_ids_helperILi32EEvPKiPiS2_S2_iiiii ; -- Begin function _ZL13mm_ids_helperILi32EEvPKiPiS2_S2_iiiii
	.p2align	8
	.type	_ZL13mm_ids_helperILi32EEvPKiPiS2_S2_iiiii,@function
_ZL13mm_ids_helperILi32EEvPKiPiS2_S2_iiiii: ; @_ZL13mm_ids_helperILi32EEvPKiPiS2_S2_iiiii
; %bb.0:
	s_load_b32 s11, s[0:1], 0x20
	v_mbcnt_lo_u32_b32 v5, -1, 0
	s_mov_b32 s2, 0
	s_wait_kmcnt 0x0
	s_cmp_gt_i32 s11, 0
	s_cbranch_scc1 .LBB5_2
; %bb.1:
	v_mbcnt_lo_u32_b32 v1, -1, 0
	s_branch .LBB5_3
.LBB5_2:
	s_mov_b32 s2, -1
                                        ; implicit-def: $vgpr1
.LBB5_3:
	s_clause 0x1
	s_load_b128 s[4:7], s[0:1], 0x8
	s_load_b96 s[8:10], s[0:1], 0x28
	v_dual_mov_b32 v4, 0 :: v_dual_mov_b32 v3, 0
	s_and_not1_b32 vcc_lo, exec_lo, s2
	s_cbranch_vccnz .LBB5_11
; %bb.4:
	s_load_b64 s[2:3], s[0:1], 0x0
	v_dual_mov_b32 v6, 0 :: v_dual_lshlrev_b32 v7, 22, v0
	v_dual_mov_b32 v8, 0x7c :: v_dual_mov_b32 v1, v0
	v_dual_mov_b32 v4, 0 :: v_dual_mov_b32 v3, 0
	s_mov_b32 s12, s11
	s_branch .LBB5_6
.LBB5_5:                                ;   in Loop: Header=BB5_6 Depth=1
	s_wait_alu 0xfffe
	s_or_b32 exec_lo, exec_lo, s13
	s_cmp_lg_u32 vcc_lo, 0
	v_cmp_gt_i32_e32 vcc_lo, ttmp9, v2
	s_cselect_b32 s13, -1, 0
	s_wait_kmcnt 0x0
	v_add_nc_u32_e32 v1, s9, v1
	s_wait_alu 0xfffe
	v_cndmask_b32_e64 v9, 0, 1, s13
	v_add_nc_u32_e32 v6, 1, v6
	s_wait_alu 0xfffd
	v_add_co_ci_u32_e64 v4, null, 0, v4, vcc_lo
	s_add_co_i32 s12, s12, -1
	ds_bpermute_b32 v9, v8, v9
	s_wait_alu 0xfffe
	s_cmp_eq_u32 s12, 0
	s_wait_dscnt 0x0
	v_add_nc_u32_e32 v3, v9, v3
	s_cbranch_scc1 .LBB5_10
.LBB5_6:                                ; =>This Inner Loop Header: Depth=1
	v_bfrev_b32_e32 v2, -2
	s_mov_b32 s13, exec_lo
	v_cmpx_gt_i32_e64 s11, v6
	s_cbranch_execz .LBB5_8
; %bb.7:                                ;   in Loop: Header=BB5_6 Depth=1
	v_ashrrev_i32_e32 v2, 31, v1
	s_delay_alu instid0(VALU_DEP_1) | instskip(SKIP_1) | instid1(VALU_DEP_1)
	v_lshlrev_b64_e32 v[9:10], 2, v[1:2]
	s_wait_kmcnt 0x0
	v_add_co_u32 v9, vcc_lo, s2, v9
	s_wait_alu 0xfffd
	s_delay_alu instid0(VALU_DEP_2)
	v_add_co_ci_u32_e64 v10, null, s3, v10, vcc_lo
	global_load_b32 v2, v[9:10], off
.LBB5_8:                                ;   in Loop: Header=BB5_6 Depth=1
	s_wait_alu 0xfffe
	s_or_b32 exec_lo, exec_lo, s13
	s_wait_loadcnt 0x0
	v_cmp_eq_u32_e32 vcc_lo, ttmp9, v2
	s_and_saveexec_b32 s13, vcc_lo
	s_cbranch_execz .LBB5_5
; %bb.9:                                ;   in Loop: Header=BB5_6 Depth=1
	v_lshl_add_u32 v9, v3, 2, 0
	v_and_or_b32 v10, 0x3fffff, v6, v7
	ds_store_b32 v9, v10
	s_branch .LBB5_5
.LBB5_10:
	v_mov_b32_e32 v1, v5
.LBB5_11:
	s_delay_alu instid0(VALU_DEP_1) | instskip(SKIP_3) | instid1(VALU_DEP_2)
	v_and_b32_e32 v2, 0xffffffe0, v1
	v_xor_b32_e32 v5, 16, v1
	s_load_b64 s[12:13], s[0:1], 0x18
	s_mov_b32 s3, exec_lo
	v_add_nc_u32_e32 v6, 32, v2
	s_delay_alu instid0(VALU_DEP_1) | instskip(SKIP_3) | instid1(VALU_DEP_2)
	v_cmp_lt_i32_e32 vcc_lo, v5, v6
	s_wait_alu 0xfffd
	v_cndmask_b32_e32 v2, v1, v5, vcc_lo
	v_xor_b32_e32 v5, 8, v1
	v_lshlrev_b32_e32 v2, 2, v2
	s_delay_alu instid0(VALU_DEP_2) | instskip(SKIP_3) | instid1(VALU_DEP_1)
	v_cmp_lt_i32_e32 vcc_lo, v5, v6
	ds_bpermute_b32 v2, v2, v4
	s_wait_alu 0xfffd
	v_cndmask_b32_e32 v5, v1, v5, vcc_lo
	v_lshlrev_b32_e32 v5, 2, v5
	s_wait_dscnt 0x0
	v_add_nc_u32_e32 v8, v2, v4
	ds_bpermute_b32 v7, v5, v8
	v_xor_b32_e32 v5, 4, v1
	s_delay_alu instid0(VALU_DEP_1) | instskip(SKIP_2) | instid1(VALU_DEP_1)
	v_cmp_lt_i32_e32 vcc_lo, v5, v6
	s_wait_alu 0xfffd
	v_cndmask_b32_e32 v5, v1, v5, vcc_lo
	v_lshlrev_b32_e32 v5, 2, v5
	s_wait_dscnt 0x0
	v_add_nc_u32_e32 v9, v7, v8
	ds_bpermute_b32 v8, v5, v9
	v_xor_b32_e32 v5, 2, v1
	s_delay_alu instid0(VALU_DEP_1) | instskip(SKIP_2) | instid1(VALU_DEP_1)
	v_cmp_lt_i32_e32 vcc_lo, v5, v6
	;; [unrolled: 9-line block ×3, first 2 shown]
	s_wait_alu 0xfffd
	v_cndmask_b32_e32 v1, v1, v5, vcc_lo
	v_lshlrev_b32_e32 v1, 2, v1
	s_wait_dscnt 0x0
	v_add_nc_u32_e32 v5, v9, v10
	ds_bpermute_b32 v6, v1, v5
	v_cmpx_lt_i32_e64 v0, v3
	s_cbranch_execz .LBB5_14
; %bb.12:
	s_wait_kmcnt 0x0
	s_abs_i32 s8, s8
	s_wait_alu 0xfffe
	s_cvt_f32_u32 s2, s8
	s_sub_co_i32 s9, 0, s8
	s_wait_alu 0xfffe
	s_delay_alu instid0(SALU_CYCLE_1) | instskip(NEXT) | instid1(TRANS32_DEP_1)
	v_rcp_iflag_f32_e32 v1, s2
	v_readfirstlane_b32 s2, v1
	v_add3_u32 v1, v2, v7, v8
	v_mov_b32_e32 v7, v0
	s_mul_f32 s2, s2, 0x4f7ffffe
	s_wait_dscnt 0x0
	s_delay_alu instid0(VALU_DEP_2) | instskip(SKIP_2) | instid1(VALU_DEP_1)
	v_add3_u32 v1, v1, v9, v6
	s_wait_alu 0xfffe
	s_cvt_u32_f32 s2, s2
	v_add3_u32 v1, v1, v0, v4
	v_lshl_add_u32 v4, v0, 2, 0
	s_wait_alu 0xfffe
	s_mul_i32 s9, s9, s2
	s_wait_alu 0xfffe
	s_mul_hi_u32 s11, s2, s9
	s_mov_b32 s9, 0
	s_wait_alu 0xfffe
	s_add_co_i32 s11, s2, s11
.LBB5_13:                               ; =>This Inner Loop Header: Depth=1
	ds_load_b32 v12, v4
	v_add_nc_u32_e32 v7, 32, v7
	v_add_nc_u32_e32 v4, 0x80, v4
	s_wait_dscnt 0x0
	v_lshrrev_b32_e32 v14, 22, v12
	v_and_b32_e32 v15, 0x3fffff, v12
	s_wait_alu 0xfffe
	s_delay_alu instid0(VALU_DEP_2) | instskip(NEXT) | instid1(VALU_DEP_1)
	v_mul_hi_u32 v2, v14, s11
	v_mul_lo_u32 v2, v2, s8
	s_delay_alu instid0(VALU_DEP_1) | instskip(SKIP_1) | instid1(VALU_DEP_2)
	v_sub_nc_u32_e32 v10, v14, v2
	v_ashrrev_i32_e32 v2, 31, v1
	v_subrev_nc_u32_e32 v11, s8, v10
	v_cmp_le_u32_e32 vcc_lo, s8, v10
	s_delay_alu instid0(VALU_DEP_3) | instskip(SKIP_1) | instid1(VALU_DEP_3)
	v_lshlrev_b64_e32 v[8:9], 2, v[1:2]
	s_wait_alu 0xfffd
	v_dual_cndmask_b32 v2, v10, v11 :: v_dual_add_nc_u32 v1, 32, v1
	v_cmp_ge_i32_e32 vcc_lo, v7, v3
	s_delay_alu instid0(VALU_DEP_3)
	v_add_co_u32 v10, s2, s4, v8
	s_wait_alu 0xf1ff
	v_add_co_ci_u32_e64 v11, null, s5, v9, s2
	v_subrev_nc_u32_e32 v13, s8, v2
	v_cmp_le_u32_e64 s2, s8, v2
	s_or_b32 s9, vcc_lo, s9
	v_cndmask_b32_e64 v2, v2, v13, s2
	v_add_co_u32 v8, s2, s6, v8
	s_wait_alu 0xf1ff
	v_add_co_ci_u32_e64 v9, null, s7, v9, s2
	s_delay_alu instid0(VALU_DEP_3)
	v_mad_co_u64_u32 v[12:13], null, v15, s10, v[2:3]
	v_lshl_add_u32 v2, v15, 5, v14
	global_store_b32 v[8:9], v2, off
	global_store_b32 v[10:11], v12, off
	s_wait_alu 0xfffe
	s_and_not1_b32 exec_lo, exec_lo, s9
	s_cbranch_execnz .LBB5_13
.LBB5_14:
	s_wait_alu 0xfffe
	s_or_b32 exec_lo, exec_lo, s3
	s_delay_alu instid0(SALU_CYCLE_1)
	s_mov_b32 s2, exec_lo
	v_cmpx_eq_u32_e32 0, v0
	s_cbranch_execz .LBB5_17
; %bb.15:
	s_load_b32 s0, s[0:1], 0x38
	s_mov_b32 s2, ttmp9
	s_ashr_i32 s3, ttmp9, 31
	s_wait_dscnt 0x0
	v_dual_mov_b32 v0, 0 :: v_dual_add_nc_u32 v1, v6, v5
	s_wait_alu 0xfffe
	s_lshl_b64 s[2:3], s[2:3], 2
	s_wait_kmcnt 0x0
	s_wait_alu 0xfffe
	s_add_nc_u64 s[2:3], s[12:13], s[2:3]
	global_store_b32 v0, v1, s[2:3]
	s_add_co_i32 s1, s0, -1
	s_wait_alu 0xfffe
	s_cmp_lt_i32 ttmp9, s1
	s_cbranch_scc1 .LBB5_17
; %bb.16:
	s_mov_b32 s1, 0
	v_add_nc_u32_e32 v1, v1, v3
	s_wait_alu 0xfffe
	s_lshl_b64 s[0:1], s[0:1], 2
	s_wait_alu 0xfffe
	s_add_nc_u64 s[0:1], s[12:13], s[0:1]
	global_store_b32 v0, v1, s[0:1]
.LBB5_17:
	s_endpgm
	.section	.rodata,"a",@progbits
	.p2align	6, 0x0
	.amdhsa_kernel _ZL13mm_ids_helperILi32EEvPKiPiS2_S2_iiiii
		.amdhsa_group_segment_fixed_size 0
		.amdhsa_private_segment_fixed_size 0
		.amdhsa_kernarg_size 312
		.amdhsa_user_sgpr_count 2
		.amdhsa_user_sgpr_dispatch_ptr 0
		.amdhsa_user_sgpr_queue_ptr 0
		.amdhsa_user_sgpr_kernarg_segment_ptr 1
		.amdhsa_user_sgpr_dispatch_id 0
		.amdhsa_user_sgpr_private_segment_size 0
		.amdhsa_wavefront_size32 1
		.amdhsa_uses_dynamic_stack 0
		.amdhsa_enable_private_segment 0
		.amdhsa_system_sgpr_workgroup_id_x 1
		.amdhsa_system_sgpr_workgroup_id_y 0
		.amdhsa_system_sgpr_workgroup_id_z 0
		.amdhsa_system_sgpr_workgroup_info 0
		.amdhsa_system_vgpr_workitem_id 0
		.amdhsa_next_free_vgpr 16
		.amdhsa_next_free_sgpr 14
		.amdhsa_reserve_vcc 1
		.amdhsa_float_round_mode_32 0
		.amdhsa_float_round_mode_16_64 0
		.amdhsa_float_denorm_mode_32 3
		.amdhsa_float_denorm_mode_16_64 3
		.amdhsa_fp16_overflow 0
		.amdhsa_workgroup_processor_mode 1
		.amdhsa_memory_ordered 1
		.amdhsa_forward_progress 1
		.amdhsa_inst_pref_size 9
		.amdhsa_round_robin_scheduling 0
		.amdhsa_exception_fp_ieee_invalid_op 0
		.amdhsa_exception_fp_denorm_src 0
		.amdhsa_exception_fp_ieee_div_zero 0
		.amdhsa_exception_fp_ieee_overflow 0
		.amdhsa_exception_fp_ieee_underflow 0
		.amdhsa_exception_fp_ieee_inexact 0
		.amdhsa_exception_int_div_zero 0
	.end_amdhsa_kernel
	.section	.text._ZL13mm_ids_helperILi32EEvPKiPiS2_S2_iiiii,"axG",@progbits,_ZL13mm_ids_helperILi32EEvPKiPiS2_S2_iiiii,comdat
.Lfunc_end5:
	.size	_ZL13mm_ids_helperILi32EEvPKiPiS2_S2_iiiii, .Lfunc_end5-_ZL13mm_ids_helperILi32EEvPKiPiS2_S2_iiiii
                                        ; -- End function
	.set _ZL13mm_ids_helperILi32EEvPKiPiS2_S2_iiiii.num_vgpr, 16
	.set _ZL13mm_ids_helperILi32EEvPKiPiS2_S2_iiiii.num_agpr, 0
	.set _ZL13mm_ids_helperILi32EEvPKiPiS2_S2_iiiii.numbered_sgpr, 14
	.set _ZL13mm_ids_helperILi32EEvPKiPiS2_S2_iiiii.num_named_barrier, 0
	.set _ZL13mm_ids_helperILi32EEvPKiPiS2_S2_iiiii.private_seg_size, 0
	.set _ZL13mm_ids_helperILi32EEvPKiPiS2_S2_iiiii.uses_vcc, 1
	.set _ZL13mm_ids_helperILi32EEvPKiPiS2_S2_iiiii.uses_flat_scratch, 0
	.set _ZL13mm_ids_helperILi32EEvPKiPiS2_S2_iiiii.has_dyn_sized_stack, 0
	.set _ZL13mm_ids_helperILi32EEvPKiPiS2_S2_iiiii.has_recursion, 0
	.set _ZL13mm_ids_helperILi32EEvPKiPiS2_S2_iiiii.has_indirect_call, 0
	.section	.AMDGPU.csdata,"",@progbits
; Kernel info:
; codeLenInByte = 1072
; TotalNumSgprs: 16
; NumVgprs: 16
; ScratchSize: 0
; MemoryBound: 0
; FloatMode: 240
; IeeeMode: 1
; LDSByteSize: 0 bytes/workgroup (compile time only)
; SGPRBlocks: 0
; VGPRBlocks: 1
; NumSGPRsForWavesPerEU: 16
; NumVGPRsForWavesPerEU: 16
; Occupancy: 16
; WaveLimiterHint : 0
; COMPUTE_PGM_RSRC2:SCRATCH_EN: 0
; COMPUTE_PGM_RSRC2:USER_SGPR: 2
; COMPUTE_PGM_RSRC2:TRAP_HANDLER: 0
; COMPUTE_PGM_RSRC2:TGID_X_EN: 1
; COMPUTE_PGM_RSRC2:TGID_Y_EN: 0
; COMPUTE_PGM_RSRC2:TGID_Z_EN: 0
; COMPUTE_PGM_RSRC2:TIDIG_COMP_CNT: 0
	.section	.text._ZL13mm_ids_helperILi0EEvPKiPiS2_S2_iiiii,"axG",@progbits,_ZL13mm_ids_helperILi0EEvPKiPiS2_S2_iiiii,comdat
	.globl	_ZL13mm_ids_helperILi0EEvPKiPiS2_S2_iiiii ; -- Begin function _ZL13mm_ids_helperILi0EEvPKiPiS2_S2_iiiii
	.p2align	8
	.type	_ZL13mm_ids_helperILi0EEvPKiPiS2_S2_iiiii,@function
_ZL13mm_ids_helperILi0EEvPKiPiS2_S2_iiiii: ; @_ZL13mm_ids_helperILi0EEvPKiPiS2_S2_iiiii
; %bb.0:
	s_clause 0x2
	s_load_b128 s[4:7], s[0:1], 0x20
	s_load_b128 s[8:11], s[0:1], 0x8
	s_load_b32 s15, s[0:1], 0x30
	s_wait_kmcnt 0x0
	s_cmp_lt_i32 s4, 1
	s_cbranch_scc1 .LBB6_9
; %bb.1:
	s_load_b64 s[12:13], s[0:1], 0x0
	v_dual_mov_b32 v4, 0 :: v_dual_mov_b32 v1, v0
	s_mov_b32 s14, 0
	s_mov_b32 s16, 0
	v_cmp_gt_i32_e32 vcc_lo, s5, v0
	s_branch .LBB6_3
.LBB6_2:                                ;   in Loop: Header=BB6_3 Depth=1
	s_wait_alu 0xfffe
	s_or_b32 exec_lo, exec_lo, s3
	v_cndmask_b32_e64 v2, 0, 1, s2
	v_add_nc_u32_e32 v1, s7, v1
	s_delay_alu instid0(VALU_DEP_2)
	v_cmp_ne_u32_e64 s2, 0, v2
	s_cmp_lg_u32 s2, 0
	s_cselect_b32 s2, -1, 0
	s_wait_alu 0xfffe
	s_cmp_lg_u32 s2, 0
	s_add_co_ci_u32 s14, s14, 0
	s_add_co_i32 s16, s16, 1
	s_wait_alu 0xfffe
	s_cmp_eq_u32 s16, s4
	s_cbranch_scc1 .LBB6_10
.LBB6_3:                                ; =>This Loop Header: Depth=1
                                        ;     Child Loop BB6_5 Depth 2
	v_mov_b32_e32 v5, -1
	s_and_saveexec_b32 s17, vcc_lo
	s_cbranch_execz .LBB6_7
; %bb.4:                                ;   in Loop: Header=BB6_3 Depth=1
	v_ashrrev_i32_e32 v2, 31, v1
	v_dual_mov_b32 v5, -1 :: v_dual_mov_b32 v6, v0
	s_mov_b32 s18, 0
	s_delay_alu instid0(VALU_DEP_2) | instskip(SKIP_1) | instid1(VALU_DEP_1)
	v_lshlrev_b64_e32 v[2:3], 2, v[1:2]
	s_wait_kmcnt 0x0
	v_add_co_u32 v2, s2, s12, v2
	s_wait_alu 0xf1ff
	s_delay_alu instid0(VALU_DEP_2)
	v_add_co_ci_u32_e64 v3, null, s13, v3, s2
.LBB6_5:                                ;   Parent Loop BB6_3 Depth=1
                                        ; =>  This Inner Loop Header: Depth=2
	global_load_b32 v7, v[2:3], off
	s_wait_loadcnt 0x0
	v_cmp_eq_u32_e64 s2, ttmp9, v7
	v_cmp_gt_i32_e64 s3, ttmp9, v7
	s_wait_alu 0xf1ff
	s_delay_alu instid0(VALU_DEP_2) | instskip(SKIP_4) | instid1(VALU_DEP_3)
	v_cndmask_b32_e64 v5, v5, v6, s2
	v_add_nc_u32_e32 v6, 32, v6
	v_add_co_u32 v2, s2, 0x80, v2
	s_wait_alu 0xf1ff
	v_add_co_ci_u32_e64 v3, null, 0, v3, s2
	v_cmp_le_i32_e64 s2, s5, v6
	v_add_co_ci_u32_e64 v4, null, 0, v4, s3
	s_wait_alu 0xfffe
	s_delay_alu instid0(VALU_DEP_2)
	s_or_b32 s18, s2, s18
	s_wait_alu 0xfffe
	s_and_not1_b32 exec_lo, exec_lo, s18
	s_cbranch_execnz .LBB6_5
; %bb.6:                                ;   in Loop: Header=BB6_3 Depth=1
	s_or_b32 exec_lo, exec_lo, s18
.LBB6_7:                                ;   in Loop: Header=BB6_3 Depth=1
	s_wait_alu 0xfffe
	s_or_b32 exec_lo, exec_lo, s17
	v_cmp_ne_u32_e64 s2, -1, v5
	s_and_saveexec_b32 s3, s2
	s_cbranch_execz .LBB6_2
; %bb.8:                                ;   in Loop: Header=BB6_3 Depth=1
	s_lshl_b32 s17, s14, 2
	s_and_b32 s18, s16, 0x3fffff
	s_wait_alu 0xfffe
	s_add_co_i32 s17, s17, 0
	v_lshl_or_b32 v2, v5, 22, s18
	s_wait_alu 0xfffe
	v_mov_b32_e32 v3, s17
	ds_store_b32 v3, v2
	s_branch .LBB6_2
.LBB6_9:
	v_mov_b32_e32 v4, 0
	s_mov_b32 s14, 0
.LBB6_10:
	v_mbcnt_lo_u32_b32 v3, -1, 0
	s_wait_kmcnt 0x0
	s_load_b64 s[12:13], s[0:1], 0x18
	s_mov_b32 s4, 0
	s_mov_b32 s3, exec_lo
	v_xor_b32_e32 v1, 16, v3
	v_xor_b32_e32 v2, 8, v3
	v_xor_b32_e32 v6, 4, v3
	v_xor_b32_e32 v7, 2, v3
	v_xor_b32_e32 v8, 1, v3
	v_cmp_gt_i32_e32 vcc_lo, 32, v1
	v_cndmask_b32_e32 v1, v3, v1, vcc_lo
	v_cmp_gt_i32_e32 vcc_lo, 32, v2
	s_wait_alu 0xfffd
	v_cndmask_b32_e32 v2, v3, v2, vcc_lo
	v_cmp_gt_i32_e32 vcc_lo, 32, v6
	s_delay_alu instid0(VALU_DEP_2)
	v_lshlrev_b32_e32 v2, 2, v2
	s_wait_alu 0xfffd
	v_dual_cndmask_b32 v6, v3, v6 :: v_dual_lshlrev_b32 v1, 2, v1
	v_cmp_gt_i32_e32 vcc_lo, 32, v7
	ds_bpermute_b32 v1, v1, v4
	s_wait_alu 0xfffd
	v_dual_cndmask_b32 v7, v3, v7 :: v_dual_lshlrev_b32 v6, 2, v6
	v_cmp_gt_i32_e32 vcc_lo, 32, v8
	s_wait_alu 0xfffd
	s_delay_alu instid0(VALU_DEP_2)
	v_dual_cndmask_b32 v8, v3, v8 :: v_dual_lshlrev_b32 v7, 2, v7
	s_wait_dscnt 0x0
	v_add_nc_u32_e32 v5, v1, v4
	ds_bpermute_b32 v2, v2, v5
	s_wait_dscnt 0x0
	v_add_nc_u32_e32 v5, v2, v5
	ds_bpermute_b32 v6, v6, v5
	;; [unrolled: 3-line block ×3, first 2 shown]
	s_wait_dscnt 0x0
	v_add_nc_u32_e32 v3, v7, v5
	v_lshlrev_b32_e32 v5, 2, v8
	ds_bpermute_b32 v5, v5, v3
	v_cmpx_gt_u32_e64 s14, v0
	s_cbranch_execz .LBB6_13
; %bb.11:
	s_abs_i32 s6, s6
	v_add3_u32 v1, v1, v2, v6
	s_wait_alu 0xfffe
	s_cvt_f32_u32 s2, s6
	s_sub_co_i32 s7, 0, s6
	v_mov_b32_e32 v6, v0
	s_wait_dscnt 0x0
	v_add3_u32 v1, v1, v7, v5
	s_wait_alu 0xfffe
	v_rcp_iflag_f32_e32 v8, s2
	s_delay_alu instid0(VALU_DEP_1) | instskip(SKIP_1) | instid1(TRANS32_DEP_1)
	v_add3_u32 v1, v1, v0, v4
	v_lshl_add_u32 v4, v0, 2, 0
	v_readfirstlane_b32 s2, v8
	s_mul_f32 s2, s2, 0x4f7ffffe
	s_wait_alu 0xfffe
	s_delay_alu instid0(SALU_CYCLE_2) | instskip(SKIP_1) | instid1(SALU_CYCLE_2)
	s_cvt_u32_f32 s2, s2
	s_wait_alu 0xfffe
	s_mul_i32 s7, s7, s2
	s_wait_alu 0xfffe
	s_mul_hi_u32 s7, s2, s7
	s_wait_alu 0xfffe
	s_add_co_i32 s7, s2, s7
.LBB6_12:                               ; =>This Inner Loop Header: Depth=1
	ds_load_b32 v12, v4
	v_add_nc_u32_e32 v6, 32, v6
	v_add_nc_u32_e32 v4, 0x80, v4
	s_wait_dscnt 0x0
	v_lshrrev_b32_e32 v7, 22, v12
	v_and_b32_e32 v14, 0x3fffff, v12
	s_wait_alu 0xfffe
	s_delay_alu instid0(VALU_DEP_2) | instskip(NEXT) | instid1(VALU_DEP_1)
	v_mul_hi_u32 v2, v7, s7
	v_mul_lo_u32 v2, v2, s6
	s_delay_alu instid0(VALU_DEP_1) | instskip(SKIP_1) | instid1(VALU_DEP_2)
	v_sub_nc_u32_e32 v10, v7, v2
	v_ashrrev_i32_e32 v2, 31, v1
	v_subrev_nc_u32_e32 v11, s6, v10
	v_cmp_le_u32_e32 vcc_lo, s6, v10
	s_delay_alu instid0(VALU_DEP_3) | instskip(SKIP_1) | instid1(VALU_DEP_3)
	v_lshlrev_b64_e32 v[8:9], 2, v[1:2]
	s_wait_alu 0xfffd
	v_dual_cndmask_b32 v2, v10, v11 :: v_dual_add_nc_u32 v1, 32, v1
	v_cmp_le_u32_e32 vcc_lo, s14, v6
	s_delay_alu instid0(VALU_DEP_3)
	v_add_co_u32 v10, s2, s10, v8
	s_wait_alu 0xf1ff
	v_add_co_ci_u32_e64 v11, null, s11, v9, s2
	v_subrev_nc_u32_e32 v13, s6, v2
	v_cmp_le_u32_e64 s2, s6, v2
	s_or_b32 s4, vcc_lo, s4
	v_cndmask_b32_e64 v2, v2, v13, s2
	v_mad_co_u64_u32 v[12:13], null, v14, s5, v[7:8]
	v_add_co_u32 v7, s2, s8, v8
	s_delay_alu instid0(VALU_DEP_3)
	v_mad_co_u64_u32 v[13:14], null, v14, s15, v[2:3]
	s_wait_alu 0xf1ff
	v_add_co_ci_u32_e64 v8, null, s9, v9, s2
	global_store_b32 v[10:11], v12, off
	global_store_b32 v[7:8], v13, off
	s_wait_alu 0xfffe
	s_and_not1_b32 exec_lo, exec_lo, s4
	s_cbranch_execnz .LBB6_12
.LBB6_13:
	s_wait_alu 0xfffe
	s_or_b32 exec_lo, exec_lo, s3
	s_delay_alu instid0(SALU_CYCLE_1)
	s_mov_b32 s2, exec_lo
	v_cmpx_eq_u32_e32 0, v0
	s_cbranch_execz .LBB6_16
; %bb.14:
	s_load_b32 s0, s[0:1], 0x38
	s_mov_b32 s2, ttmp9
	s_ashr_i32 s3, ttmp9, 31
	s_wait_dscnt 0x0
	v_dual_mov_b32 v0, 0 :: v_dual_add_nc_u32 v1, v5, v3
	s_wait_alu 0xfffe
	s_lshl_b64 s[2:3], s[2:3], 2
	s_wait_kmcnt 0x0
	s_wait_alu 0xfffe
	s_add_nc_u64 s[2:3], s[12:13], s[2:3]
	global_store_b32 v0, v1, s[2:3]
	s_add_co_i32 s1, s0, -1
	s_wait_alu 0xfffe
	s_cmp_lt_i32 ttmp9, s1
	s_cbranch_scc1 .LBB6_16
; %bb.15:
	s_mov_b32 s1, 0
	v_add_nc_u32_e32 v1, s14, v1
	s_wait_alu 0xfffe
	s_lshl_b64 s[0:1], s[0:1], 2
	s_wait_alu 0xfffe
	s_add_nc_u64 s[0:1], s[12:13], s[0:1]
	global_store_b32 v0, v1, s[0:1]
.LBB6_16:
	s_endpgm
	.section	.rodata,"a",@progbits
	.p2align	6, 0x0
	.amdhsa_kernel _ZL13mm_ids_helperILi0EEvPKiPiS2_S2_iiiii
		.amdhsa_group_segment_fixed_size 0
		.amdhsa_private_segment_fixed_size 0
		.amdhsa_kernarg_size 312
		.amdhsa_user_sgpr_count 2
		.amdhsa_user_sgpr_dispatch_ptr 0
		.amdhsa_user_sgpr_queue_ptr 0
		.amdhsa_user_sgpr_kernarg_segment_ptr 1
		.amdhsa_user_sgpr_dispatch_id 0
		.amdhsa_user_sgpr_private_segment_size 0
		.amdhsa_wavefront_size32 1
		.amdhsa_uses_dynamic_stack 0
		.amdhsa_enable_private_segment 0
		.amdhsa_system_sgpr_workgroup_id_x 1
		.amdhsa_system_sgpr_workgroup_id_y 0
		.amdhsa_system_sgpr_workgroup_id_z 0
		.amdhsa_system_sgpr_workgroup_info 0
		.amdhsa_system_vgpr_workitem_id 0
		.amdhsa_next_free_vgpr 15
		.amdhsa_next_free_sgpr 19
		.amdhsa_reserve_vcc 1
		.amdhsa_float_round_mode_32 0
		.amdhsa_float_round_mode_16_64 0
		.amdhsa_float_denorm_mode_32 3
		.amdhsa_float_denorm_mode_16_64 3
		.amdhsa_fp16_overflow 0
		.amdhsa_workgroup_processor_mode 1
		.amdhsa_memory_ordered 1
		.amdhsa_forward_progress 1
		.amdhsa_inst_pref_size 9
		.amdhsa_round_robin_scheduling 0
		.amdhsa_exception_fp_ieee_invalid_op 0
		.amdhsa_exception_fp_denorm_src 0
		.amdhsa_exception_fp_ieee_div_zero 0
		.amdhsa_exception_fp_ieee_overflow 0
		.amdhsa_exception_fp_ieee_underflow 0
		.amdhsa_exception_fp_ieee_inexact 0
		.amdhsa_exception_int_div_zero 0
	.end_amdhsa_kernel
	.section	.text._ZL13mm_ids_helperILi0EEvPKiPiS2_S2_iiiii,"axG",@progbits,_ZL13mm_ids_helperILi0EEvPKiPiS2_S2_iiiii,comdat
.Lfunc_end6:
	.size	_ZL13mm_ids_helperILi0EEvPKiPiS2_S2_iiiii, .Lfunc_end6-_ZL13mm_ids_helperILi0EEvPKiPiS2_S2_iiiii
                                        ; -- End function
	.set _ZL13mm_ids_helperILi0EEvPKiPiS2_S2_iiiii.num_vgpr, 15
	.set _ZL13mm_ids_helperILi0EEvPKiPiS2_S2_iiiii.num_agpr, 0
	.set _ZL13mm_ids_helperILi0EEvPKiPiS2_S2_iiiii.numbered_sgpr, 19
	.set _ZL13mm_ids_helperILi0EEvPKiPiS2_S2_iiiii.num_named_barrier, 0
	.set _ZL13mm_ids_helperILi0EEvPKiPiS2_S2_iiiii.private_seg_size, 0
	.set _ZL13mm_ids_helperILi0EEvPKiPiS2_S2_iiiii.uses_vcc, 1
	.set _ZL13mm_ids_helperILi0EEvPKiPiS2_S2_iiiii.uses_flat_scratch, 0
	.set _ZL13mm_ids_helperILi0EEvPKiPiS2_S2_iiiii.has_dyn_sized_stack, 0
	.set _ZL13mm_ids_helperILi0EEvPKiPiS2_S2_iiiii.has_recursion, 0
	.set _ZL13mm_ids_helperILi0EEvPKiPiS2_S2_iiiii.has_indirect_call, 0
	.section	.AMDGPU.csdata,"",@progbits
; Kernel info:
; codeLenInByte = 1104
; TotalNumSgprs: 21
; NumVgprs: 15
; ScratchSize: 0
; MemoryBound: 0
; FloatMode: 240
; IeeeMode: 1
; LDSByteSize: 0 bytes/workgroup (compile time only)
; SGPRBlocks: 0
; VGPRBlocks: 1
; NumSGPRsForWavesPerEU: 21
; NumVGPRsForWavesPerEU: 15
; Occupancy: 16
; WaveLimiterHint : 0
; COMPUTE_PGM_RSRC2:SCRATCH_EN: 0
; COMPUTE_PGM_RSRC2:USER_SGPR: 2
; COMPUTE_PGM_RSRC2:TRAP_HANDLER: 0
; COMPUTE_PGM_RSRC2:TGID_X_EN: 1
; COMPUTE_PGM_RSRC2:TGID_Y_EN: 0
; COMPUTE_PGM_RSRC2:TGID_Z_EN: 0
; COMPUTE_PGM_RSRC2:TIDIG_COMP_CNT: 0
	.section	.AMDGPU.gpr_maximums,"",@progbits
	.set amdgpu.max_num_vgpr, 0
	.set amdgpu.max_num_agpr, 0
	.set amdgpu.max_num_sgpr, 0
	.section	.AMDGPU.csdata,"",@progbits
	.type	__hip_cuid_56816d1d179bd496,@object ; @__hip_cuid_56816d1d179bd496
	.section	.bss,"aw",@nobits
	.globl	__hip_cuid_56816d1d179bd496
__hip_cuid_56816d1d179bd496:
	.byte	0                               ; 0x0
	.size	__hip_cuid_56816d1d179bd496, 1

	.ident	"AMD clang version 22.0.0git (https://github.com/RadeonOpenCompute/llvm-project roc-7.2.4 26084 f58b06dce1f9c15707c5f808fd002e18c2accf7e)"
	.section	".note.GNU-stack","",@progbits
	.addrsig
	.addrsig_sym __hip_cuid_56816d1d179bd496
	.amdgpu_metadata
---
amdhsa.kernels:
  - .args:
      - .actual_access:  read_only
        .address_space:  global
        .offset:         0
        .size:           8
        .value_kind:     global_buffer
      - .actual_access:  write_only
        .address_space:  global
        .offset:         8
        .size:           8
        .value_kind:     global_buffer
      - .actual_access:  write_only
        .address_space:  global
        .offset:         16
        .size:           8
        .value_kind:     global_buffer
      - .actual_access:  write_only
        .address_space:  global
        .offset:         24
        .size:           8
        .value_kind:     global_buffer
      - .offset:         32
        .size:           4
        .value_kind:     by_value
      - .offset:         36
        .size:           4
        .value_kind:     by_value
      - .offset:         40
        .size:           4
        .value_kind:     by_value
      - .offset:         44
        .size:           4
        .value_kind:     by_value
      - .offset:         48
        .size:           4
        .value_kind:     by_value
      - .offset:         56
        .size:           4
        .value_kind:     hidden_block_count_x
      - .offset:         60
        .size:           4
        .value_kind:     hidden_block_count_y
      - .offset:         64
        .size:           4
        .value_kind:     hidden_block_count_z
      - .offset:         68
        .size:           2
        .value_kind:     hidden_group_size_x
      - .offset:         70
        .size:           2
        .value_kind:     hidden_group_size_y
      - .offset:         72
        .size:           2
        .value_kind:     hidden_group_size_z
      - .offset:         74
        .size:           2
        .value_kind:     hidden_remainder_x
      - .offset:         76
        .size:           2
        .value_kind:     hidden_remainder_y
      - .offset:         78
        .size:           2
        .value_kind:     hidden_remainder_z
      - .offset:         96
        .size:           8
        .value_kind:     hidden_global_offset_x
      - .offset:         104
        .size:           8
        .value_kind:     hidden_global_offset_y
      - .offset:         112
        .size:           8
        .value_kind:     hidden_global_offset_z
      - .offset:         120
        .size:           2
        .value_kind:     hidden_grid_dims
      - .offset:         176
        .size:           4
        .value_kind:     hidden_dynamic_lds_size
    .group_segment_fixed_size: 0
    .kernarg_segment_align: 8
    .kernarg_segment_size: 312
    .language:       OpenCL C
    .language_version:
      - 2
      - 0
    .max_flat_workgroup_size: 32
    .name:           _ZL13mm_ids_helperILi2EEvPKiPiS2_S2_iiiii
    .private_segment_fixed_size: 0
    .sgpr_count:     30
    .sgpr_spill_count: 0
    .symbol:         _ZL13mm_ids_helperILi2EEvPKiPiS2_S2_iiiii.kd
    .uniform_work_group_size: 1
    .uses_dynamic_stack: false
    .vgpr_count:     43
    .vgpr_spill_count: 0
    .wavefront_size: 32
    .workgroup_processor_mode: 1
  - .args:
      - .actual_access:  read_only
        .address_space:  global
        .offset:         0
        .size:           8
        .value_kind:     global_buffer
      - .actual_access:  write_only
        .address_space:  global
        .offset:         8
        .size:           8
        .value_kind:     global_buffer
      - .actual_access:  write_only
        .address_space:  global
        .offset:         16
        .size:           8
        .value_kind:     global_buffer
      - .actual_access:  write_only
        .address_space:  global
        .offset:         24
        .size:           8
        .value_kind:     global_buffer
      - .offset:         32
        .size:           4
        .value_kind:     by_value
      - .offset:         36
        .size:           4
        .value_kind:     by_value
      - .offset:         40
        .size:           4
        .value_kind:     by_value
      - .offset:         44
        .size:           4
        .value_kind:     by_value
      - .offset:         48
        .size:           4
        .value_kind:     by_value
      - .offset:         56
        .size:           4
        .value_kind:     hidden_block_count_x
      - .offset:         60
        .size:           4
        .value_kind:     hidden_block_count_y
      - .offset:         64
        .size:           4
        .value_kind:     hidden_block_count_z
      - .offset:         68
        .size:           2
        .value_kind:     hidden_group_size_x
      - .offset:         70
        .size:           2
        .value_kind:     hidden_group_size_y
      - .offset:         72
        .size:           2
        .value_kind:     hidden_group_size_z
      - .offset:         74
        .size:           2
        .value_kind:     hidden_remainder_x
      - .offset:         76
        .size:           2
        .value_kind:     hidden_remainder_y
      - .offset:         78
        .size:           2
        .value_kind:     hidden_remainder_z
      - .offset:         96
        .size:           8
        .value_kind:     hidden_global_offset_x
      - .offset:         104
        .size:           8
        .value_kind:     hidden_global_offset_y
      - .offset:         112
        .size:           8
        .value_kind:     hidden_global_offset_z
      - .offset:         120
        .size:           2
        .value_kind:     hidden_grid_dims
      - .offset:         176
        .size:           4
        .value_kind:     hidden_dynamic_lds_size
    .group_segment_fixed_size: 0
    .kernarg_segment_align: 8
    .kernarg_segment_size: 312
    .language:       OpenCL C
    .language_version:
      - 2
      - 0
    .max_flat_workgroup_size: 32
    .name:           _ZL13mm_ids_helperILi4EEvPKiPiS2_S2_iiiii
    .private_segment_fixed_size: 0
    .sgpr_count:     22
    .sgpr_spill_count: 0
    .symbol:         _ZL13mm_ids_helperILi4EEvPKiPiS2_S2_iiiii.kd
    .uniform_work_group_size: 1
    .uses_dynamic_stack: false
    .vgpr_count:     31
    .vgpr_spill_count: 0
    .wavefront_size: 32
    .workgroup_processor_mode: 1
  - .args:
      - .actual_access:  read_only
        .address_space:  global
        .offset:         0
        .size:           8
        .value_kind:     global_buffer
      - .actual_access:  write_only
        .address_space:  global
        .offset:         8
        .size:           8
        .value_kind:     global_buffer
      - .actual_access:  write_only
        .address_space:  global
        .offset:         16
        .size:           8
        .value_kind:     global_buffer
      - .actual_access:  write_only
        .address_space:  global
        .offset:         24
        .size:           8
        .value_kind:     global_buffer
      - .offset:         32
        .size:           4
        .value_kind:     by_value
      - .offset:         36
        .size:           4
        .value_kind:     by_value
      - .offset:         40
        .size:           4
        .value_kind:     by_value
      - .offset:         44
        .size:           4
        .value_kind:     by_value
      - .offset:         48
        .size:           4
        .value_kind:     by_value
      - .offset:         56
        .size:           4
        .value_kind:     hidden_block_count_x
      - .offset:         60
        .size:           4
        .value_kind:     hidden_block_count_y
      - .offset:         64
        .size:           4
        .value_kind:     hidden_block_count_z
      - .offset:         68
        .size:           2
        .value_kind:     hidden_group_size_x
      - .offset:         70
        .size:           2
        .value_kind:     hidden_group_size_y
      - .offset:         72
        .size:           2
        .value_kind:     hidden_group_size_z
      - .offset:         74
        .size:           2
        .value_kind:     hidden_remainder_x
      - .offset:         76
        .size:           2
        .value_kind:     hidden_remainder_y
      - .offset:         78
        .size:           2
        .value_kind:     hidden_remainder_z
      - .offset:         96
        .size:           8
        .value_kind:     hidden_global_offset_x
      - .offset:         104
        .size:           8
        .value_kind:     hidden_global_offset_y
      - .offset:         112
        .size:           8
        .value_kind:     hidden_global_offset_z
      - .offset:         120
        .size:           2
        .value_kind:     hidden_grid_dims
      - .offset:         176
        .size:           4
        .value_kind:     hidden_dynamic_lds_size
    .group_segment_fixed_size: 0
    .kernarg_segment_align: 8
    .kernarg_segment_size: 312
    .language:       OpenCL C
    .language_version:
      - 2
      - 0
    .max_flat_workgroup_size: 32
    .name:           _ZL13mm_ids_helperILi6EEvPKiPiS2_S2_iiiii
    .private_segment_fixed_size: 0
    .sgpr_count:     20
    .sgpr_spill_count: 0
    .symbol:         _ZL13mm_ids_helperILi6EEvPKiPiS2_S2_iiiii.kd
    .uniform_work_group_size: 1
    .uses_dynamic_stack: false
    .vgpr_count:     25
    .vgpr_spill_count: 0
    .wavefront_size: 32
    .workgroup_processor_mode: 1
  - .args:
      - .actual_access:  read_only
        .address_space:  global
        .offset:         0
        .size:           8
        .value_kind:     global_buffer
      - .actual_access:  write_only
        .address_space:  global
        .offset:         8
        .size:           8
        .value_kind:     global_buffer
      - .actual_access:  write_only
        .address_space:  global
        .offset:         16
        .size:           8
        .value_kind:     global_buffer
      - .actual_access:  write_only
        .address_space:  global
        .offset:         24
        .size:           8
        .value_kind:     global_buffer
      - .offset:         32
        .size:           4
        .value_kind:     by_value
      - .offset:         36
        .size:           4
        .value_kind:     by_value
      - .offset:         40
        .size:           4
        .value_kind:     by_value
      - .offset:         44
        .size:           4
        .value_kind:     by_value
      - .offset:         48
        .size:           4
        .value_kind:     by_value
      - .offset:         56
        .size:           4
        .value_kind:     hidden_block_count_x
      - .offset:         60
        .size:           4
        .value_kind:     hidden_block_count_y
      - .offset:         64
        .size:           4
        .value_kind:     hidden_block_count_z
      - .offset:         68
        .size:           2
        .value_kind:     hidden_group_size_x
      - .offset:         70
        .size:           2
        .value_kind:     hidden_group_size_y
      - .offset:         72
        .size:           2
        .value_kind:     hidden_group_size_z
      - .offset:         74
        .size:           2
        .value_kind:     hidden_remainder_x
      - .offset:         76
        .size:           2
        .value_kind:     hidden_remainder_y
      - .offset:         78
        .size:           2
        .value_kind:     hidden_remainder_z
      - .offset:         96
        .size:           8
        .value_kind:     hidden_global_offset_x
      - .offset:         104
        .size:           8
        .value_kind:     hidden_global_offset_y
      - .offset:         112
        .size:           8
        .value_kind:     hidden_global_offset_z
      - .offset:         120
        .size:           2
        .value_kind:     hidden_grid_dims
      - .offset:         176
        .size:           4
        .value_kind:     hidden_dynamic_lds_size
    .group_segment_fixed_size: 0
    .kernarg_segment_align: 8
    .kernarg_segment_size: 312
    .language:       OpenCL C
    .language_version:
      - 2
      - 0
    .max_flat_workgroup_size: 32
    .name:           _ZL13mm_ids_helperILi8EEvPKiPiS2_S2_iiiii
    .private_segment_fixed_size: 0
    .sgpr_count:     18
    .sgpr_spill_count: 0
    .symbol:         _ZL13mm_ids_helperILi8EEvPKiPiS2_S2_iiiii.kd
    .uniform_work_group_size: 1
    .uses_dynamic_stack: false
    .vgpr_count:     25
    .vgpr_spill_count: 0
    .wavefront_size: 32
    .workgroup_processor_mode: 1
  - .args:
      - .actual_access:  read_only
        .address_space:  global
        .offset:         0
        .size:           8
        .value_kind:     global_buffer
      - .actual_access:  write_only
        .address_space:  global
        .offset:         8
        .size:           8
        .value_kind:     global_buffer
      - .actual_access:  write_only
        .address_space:  global
        .offset:         16
        .size:           8
        .value_kind:     global_buffer
      - .actual_access:  write_only
        .address_space:  global
        .offset:         24
        .size:           8
        .value_kind:     global_buffer
      - .offset:         32
        .size:           4
        .value_kind:     by_value
      - .offset:         36
        .size:           4
        .value_kind:     by_value
      - .offset:         40
        .size:           4
        .value_kind:     by_value
      - .offset:         44
        .size:           4
        .value_kind:     by_value
      - .offset:         48
        .size:           4
        .value_kind:     by_value
      - .offset:         56
        .size:           4
        .value_kind:     hidden_block_count_x
      - .offset:         60
        .size:           4
        .value_kind:     hidden_block_count_y
      - .offset:         64
        .size:           4
        .value_kind:     hidden_block_count_z
      - .offset:         68
        .size:           2
        .value_kind:     hidden_group_size_x
      - .offset:         70
        .size:           2
        .value_kind:     hidden_group_size_y
      - .offset:         72
        .size:           2
        .value_kind:     hidden_group_size_z
      - .offset:         74
        .size:           2
        .value_kind:     hidden_remainder_x
      - .offset:         76
        .size:           2
        .value_kind:     hidden_remainder_y
      - .offset:         78
        .size:           2
        .value_kind:     hidden_remainder_z
      - .offset:         96
        .size:           8
        .value_kind:     hidden_global_offset_x
      - .offset:         104
        .size:           8
        .value_kind:     hidden_global_offset_y
      - .offset:         112
        .size:           8
        .value_kind:     hidden_global_offset_z
      - .offset:         120
        .size:           2
        .value_kind:     hidden_grid_dims
      - .offset:         176
        .size:           4
        .value_kind:     hidden_dynamic_lds_size
    .group_segment_fixed_size: 0
    .kernarg_segment_align: 8
    .kernarg_segment_size: 312
    .language:       OpenCL C
    .language_version:
      - 2
      - 0
    .max_flat_workgroup_size: 32
    .name:           _ZL13mm_ids_helperILi16EEvPKiPiS2_S2_iiiii
    .private_segment_fixed_size: 0
    .sgpr_count:     16
    .sgpr_spill_count: 0
    .symbol:         _ZL13mm_ids_helperILi16EEvPKiPiS2_S2_iiiii.kd
    .uniform_work_group_size: 1
    .uses_dynamic_stack: false
    .vgpr_count:     25
    .vgpr_spill_count: 0
    .wavefront_size: 32
    .workgroup_processor_mode: 1
  - .args:
      - .actual_access:  read_only
        .address_space:  global
        .offset:         0
        .size:           8
        .value_kind:     global_buffer
      - .actual_access:  write_only
        .address_space:  global
        .offset:         8
        .size:           8
        .value_kind:     global_buffer
      - .actual_access:  write_only
        .address_space:  global
        .offset:         16
        .size:           8
        .value_kind:     global_buffer
      - .actual_access:  write_only
        .address_space:  global
        .offset:         24
        .size:           8
        .value_kind:     global_buffer
      - .offset:         32
        .size:           4
        .value_kind:     by_value
      - .offset:         36
        .size:           4
        .value_kind:     by_value
      - .offset:         40
        .size:           4
        .value_kind:     by_value
      - .offset:         44
        .size:           4
        .value_kind:     by_value
      - .offset:         48
        .size:           4
        .value_kind:     by_value
      - .offset:         56
        .size:           4
        .value_kind:     hidden_block_count_x
      - .offset:         60
        .size:           4
        .value_kind:     hidden_block_count_y
      - .offset:         64
        .size:           4
        .value_kind:     hidden_block_count_z
      - .offset:         68
        .size:           2
        .value_kind:     hidden_group_size_x
      - .offset:         70
        .size:           2
        .value_kind:     hidden_group_size_y
      - .offset:         72
        .size:           2
        .value_kind:     hidden_group_size_z
      - .offset:         74
        .size:           2
        .value_kind:     hidden_remainder_x
      - .offset:         76
        .size:           2
        .value_kind:     hidden_remainder_y
      - .offset:         78
        .size:           2
        .value_kind:     hidden_remainder_z
      - .offset:         96
        .size:           8
        .value_kind:     hidden_global_offset_x
      - .offset:         104
        .size:           8
        .value_kind:     hidden_global_offset_y
      - .offset:         112
        .size:           8
        .value_kind:     hidden_global_offset_z
      - .offset:         120
        .size:           2
        .value_kind:     hidden_grid_dims
      - .offset:         176
        .size:           4
        .value_kind:     hidden_dynamic_lds_size
    .group_segment_fixed_size: 0
    .kernarg_segment_align: 8
    .kernarg_segment_size: 312
    .language:       OpenCL C
    .language_version:
      - 2
      - 0
    .max_flat_workgroup_size: 32
    .name:           _ZL13mm_ids_helperILi32EEvPKiPiS2_S2_iiiii
    .private_segment_fixed_size: 0
    .sgpr_count:     16
    .sgpr_spill_count: 0
    .symbol:         _ZL13mm_ids_helperILi32EEvPKiPiS2_S2_iiiii.kd
    .uniform_work_group_size: 1
    .uses_dynamic_stack: false
    .vgpr_count:     16
    .vgpr_spill_count: 0
    .wavefront_size: 32
    .workgroup_processor_mode: 1
  - .args:
      - .actual_access:  read_only
        .address_space:  global
        .offset:         0
        .size:           8
        .value_kind:     global_buffer
      - .actual_access:  write_only
        .address_space:  global
        .offset:         8
        .size:           8
        .value_kind:     global_buffer
      - .actual_access:  write_only
        .address_space:  global
        .offset:         16
        .size:           8
        .value_kind:     global_buffer
      - .actual_access:  write_only
        .address_space:  global
        .offset:         24
        .size:           8
        .value_kind:     global_buffer
      - .offset:         32
        .size:           4
        .value_kind:     by_value
      - .offset:         36
        .size:           4
        .value_kind:     by_value
      - .offset:         40
        .size:           4
        .value_kind:     by_value
      - .offset:         44
        .size:           4
        .value_kind:     by_value
      - .offset:         48
        .size:           4
        .value_kind:     by_value
      - .offset:         56
        .size:           4
        .value_kind:     hidden_block_count_x
      - .offset:         60
        .size:           4
        .value_kind:     hidden_block_count_y
      - .offset:         64
        .size:           4
        .value_kind:     hidden_block_count_z
      - .offset:         68
        .size:           2
        .value_kind:     hidden_group_size_x
      - .offset:         70
        .size:           2
        .value_kind:     hidden_group_size_y
      - .offset:         72
        .size:           2
        .value_kind:     hidden_group_size_z
      - .offset:         74
        .size:           2
        .value_kind:     hidden_remainder_x
      - .offset:         76
        .size:           2
        .value_kind:     hidden_remainder_y
      - .offset:         78
        .size:           2
        .value_kind:     hidden_remainder_z
      - .offset:         96
        .size:           8
        .value_kind:     hidden_global_offset_x
      - .offset:         104
        .size:           8
        .value_kind:     hidden_global_offset_y
      - .offset:         112
        .size:           8
        .value_kind:     hidden_global_offset_z
      - .offset:         120
        .size:           2
        .value_kind:     hidden_grid_dims
      - .offset:         176
        .size:           4
        .value_kind:     hidden_dynamic_lds_size
    .group_segment_fixed_size: 0
    .kernarg_segment_align: 8
    .kernarg_segment_size: 312
    .language:       OpenCL C
    .language_version:
      - 2
      - 0
    .max_flat_workgroup_size: 32
    .name:           _ZL13mm_ids_helperILi0EEvPKiPiS2_S2_iiiii
    .private_segment_fixed_size: 0
    .sgpr_count:     21
    .sgpr_spill_count: 0
    .symbol:         _ZL13mm_ids_helperILi0EEvPKiPiS2_S2_iiiii.kd
    .uniform_work_group_size: 1
    .uses_dynamic_stack: false
    .vgpr_count:     15
    .vgpr_spill_count: 0
    .wavefront_size: 32
    .workgroup_processor_mode: 1
amdhsa.target:   amdgcn-amd-amdhsa--gfx1201
amdhsa.version:
  - 1
  - 2
...

	.end_amdgpu_metadata
